;; amdgpu-corpus repo=ROCm/rocFFT kind=compiled arch=gfx1030 opt=O3
	.text
	.amdgcn_target "amdgcn-amd-amdhsa--gfx1030"
	.amdhsa_code_object_version 6
	.protected	fft_rtc_back_len408_factors_17_3_8_wgs_51_tpt_17_halfLds_sp_op_CI_CI_unitstride_sbrr_C2R_dirReg ; -- Begin function fft_rtc_back_len408_factors_17_3_8_wgs_51_tpt_17_halfLds_sp_op_CI_CI_unitstride_sbrr_C2R_dirReg
	.globl	fft_rtc_back_len408_factors_17_3_8_wgs_51_tpt_17_halfLds_sp_op_CI_CI_unitstride_sbrr_C2R_dirReg
	.p2align	8
	.type	fft_rtc_back_len408_factors_17_3_8_wgs_51_tpt_17_halfLds_sp_op_CI_CI_unitstride_sbrr_C2R_dirReg,@function
fft_rtc_back_len408_factors_17_3_8_wgs_51_tpt_17_halfLds_sp_op_CI_CI_unitstride_sbrr_C2R_dirReg: ; @fft_rtc_back_len408_factors_17_3_8_wgs_51_tpt_17_halfLds_sp_op_CI_CI_unitstride_sbrr_C2R_dirReg
; %bb.0:
	s_load_dwordx4 s[12:15], s[4:5], 0x0
	v_mul_u32_u24_e32 v1, 0xf10, v0
	s_clause 0x1
	s_load_dwordx4 s[8:11], s[4:5], 0x58
	s_load_dwordx4 s[16:19], s[4:5], 0x18
	v_mov_b32_e32 v5, 0
	v_lshrrev_b32_e32 v3, 16, v1
	v_mov_b32_e32 v1, 0
	v_mov_b32_e32 v2, 0
	v_mad_u64_u32 v[3:4], null, s6, 3, v[3:4]
	v_mov_b32_e32 v4, v5
	v_mov_b32_e32 v65, v2
	;; [unrolled: 1-line block ×5, first 2 shown]
	s_waitcnt lgkmcnt(0)
	v_cmp_lt_u64_e64 s0, s[14:15], 2
	s_and_b32 vcc_lo, exec_lo, s0
	s_cbranch_vccnz .LBB0_8
; %bb.1:
	s_load_dwordx2 s[0:1], s[4:5], 0x10
	v_mov_b32_e32 v1, 0
	v_mov_b32_e32 v2, 0
	s_add_u32 s2, s18, 8
	v_mov_b32_e32 v8, v4
	s_addc_u32 s3, s19, 0
	v_mov_b32_e32 v7, v3
	v_mov_b32_e32 v65, v2
	s_add_u32 s6, s16, 8
	v_mov_b32_e32 v64, v1
	s_addc_u32 s7, s17, 0
	s_mov_b64 s[22:23], 1
	s_waitcnt lgkmcnt(0)
	s_add_u32 s20, s0, 8
	s_addc_u32 s21, s1, 0
.LBB0_2:                                ; =>This Inner Loop Header: Depth=1
	s_load_dwordx2 s[24:25], s[20:21], 0x0
                                        ; implicit-def: $vgpr68_vgpr69
	s_mov_b32 s0, exec_lo
	s_waitcnt lgkmcnt(0)
	v_or_b32_e32 v6, s25, v8
	v_cmpx_ne_u64_e32 0, v[5:6]
	s_xor_b32 s1, exec_lo, s0
	s_cbranch_execz .LBB0_4
; %bb.3:                                ;   in Loop: Header=BB0_2 Depth=1
	v_cvt_f32_u32_e32 v4, s24
	v_cvt_f32_u32_e32 v6, s25
	s_sub_u32 s0, 0, s24
	s_subb_u32 s26, 0, s25
	v_fmac_f32_e32 v4, 0x4f800000, v6
	v_rcp_f32_e32 v4, v4
	v_mul_f32_e32 v4, 0x5f7ffffc, v4
	v_mul_f32_e32 v6, 0x2f800000, v4
	v_trunc_f32_e32 v6, v6
	v_fmac_f32_e32 v4, 0xcf800000, v6
	v_cvt_u32_f32_e32 v6, v6
	v_cvt_u32_f32_e32 v4, v4
	v_mul_lo_u32 v9, s0, v6
	v_mul_hi_u32 v10, s0, v4
	v_mul_lo_u32 v11, s26, v4
	v_add_nc_u32_e32 v9, v10, v9
	v_mul_lo_u32 v10, s0, v4
	v_add_nc_u32_e32 v9, v9, v11
	v_mul_hi_u32 v11, v4, v10
	v_mul_lo_u32 v12, v4, v9
	v_mul_hi_u32 v13, v4, v9
	v_mul_hi_u32 v14, v6, v10
	v_mul_lo_u32 v10, v6, v10
	v_mul_hi_u32 v15, v6, v9
	v_mul_lo_u32 v9, v6, v9
	v_add_co_u32 v11, vcc_lo, v11, v12
	v_add_co_ci_u32_e32 v12, vcc_lo, 0, v13, vcc_lo
	v_add_co_u32 v10, vcc_lo, v11, v10
	v_add_co_ci_u32_e32 v10, vcc_lo, v12, v14, vcc_lo
	v_add_co_ci_u32_e32 v11, vcc_lo, 0, v15, vcc_lo
	v_add_co_u32 v9, vcc_lo, v10, v9
	v_add_co_ci_u32_e32 v10, vcc_lo, 0, v11, vcc_lo
	v_add_co_u32 v4, vcc_lo, v4, v9
	v_add_co_ci_u32_e32 v6, vcc_lo, v6, v10, vcc_lo
	v_mul_hi_u32 v9, s0, v4
	v_mul_lo_u32 v11, s26, v4
	v_mul_lo_u32 v10, s0, v6
	v_add_nc_u32_e32 v9, v9, v10
	v_mul_lo_u32 v10, s0, v4
	v_add_nc_u32_e32 v9, v9, v11
	v_mul_hi_u32 v11, v4, v10
	v_mul_lo_u32 v12, v4, v9
	v_mul_hi_u32 v13, v4, v9
	v_mul_hi_u32 v14, v6, v10
	v_mul_lo_u32 v10, v6, v10
	v_mul_hi_u32 v15, v6, v9
	v_mul_lo_u32 v9, v6, v9
	v_add_co_u32 v11, vcc_lo, v11, v12
	v_add_co_ci_u32_e32 v12, vcc_lo, 0, v13, vcc_lo
	v_add_co_u32 v10, vcc_lo, v11, v10
	v_add_co_ci_u32_e32 v10, vcc_lo, v12, v14, vcc_lo
	v_add_co_ci_u32_e32 v11, vcc_lo, 0, v15, vcc_lo
	v_add_co_u32 v9, vcc_lo, v10, v9
	v_add_co_ci_u32_e32 v10, vcc_lo, 0, v11, vcc_lo
	v_add_co_u32 v4, vcc_lo, v4, v9
	v_add_co_ci_u32_e32 v6, vcc_lo, v6, v10, vcc_lo
	v_mul_hi_u32 v15, v7, v4
	v_mad_u64_u32 v[11:12], null, v8, v4, 0
	v_mad_u64_u32 v[9:10], null, v7, v6, 0
	;; [unrolled: 1-line block ×3, first 2 shown]
	v_add_co_u32 v4, vcc_lo, v15, v9
	v_add_co_ci_u32_e32 v6, vcc_lo, 0, v10, vcc_lo
	v_add_co_u32 v4, vcc_lo, v4, v11
	v_add_co_ci_u32_e32 v4, vcc_lo, v6, v12, vcc_lo
	v_add_co_ci_u32_e32 v6, vcc_lo, 0, v14, vcc_lo
	v_add_co_u32 v4, vcc_lo, v4, v13
	v_add_co_ci_u32_e32 v6, vcc_lo, 0, v6, vcc_lo
	v_mul_lo_u32 v11, s25, v4
	v_mad_u64_u32 v[9:10], null, s24, v4, 0
	v_mul_lo_u32 v12, s24, v6
	v_sub_co_u32 v9, vcc_lo, v7, v9
	v_add3_u32 v10, v10, v12, v11
	v_sub_nc_u32_e32 v11, v8, v10
	v_subrev_co_ci_u32_e64 v11, s0, s25, v11, vcc_lo
	v_add_co_u32 v12, s0, v4, 2
	v_add_co_ci_u32_e64 v13, s0, 0, v6, s0
	v_sub_co_u32 v14, s0, v9, s24
	v_sub_co_ci_u32_e32 v10, vcc_lo, v8, v10, vcc_lo
	v_subrev_co_ci_u32_e64 v11, s0, 0, v11, s0
	v_cmp_le_u32_e32 vcc_lo, s24, v14
	v_cmp_eq_u32_e64 s0, s25, v10
	v_cndmask_b32_e64 v14, 0, -1, vcc_lo
	v_cmp_le_u32_e32 vcc_lo, s25, v11
	v_cndmask_b32_e64 v15, 0, -1, vcc_lo
	v_cmp_le_u32_e32 vcc_lo, s24, v9
	;; [unrolled: 2-line block ×3, first 2 shown]
	v_cndmask_b32_e64 v16, 0, -1, vcc_lo
	v_cmp_eq_u32_e32 vcc_lo, s25, v11
	v_cndmask_b32_e64 v9, v16, v9, s0
	v_cndmask_b32_e32 v11, v15, v14, vcc_lo
	v_add_co_u32 v14, vcc_lo, v4, 1
	v_add_co_ci_u32_e32 v15, vcc_lo, 0, v6, vcc_lo
	v_cmp_ne_u32_e32 vcc_lo, 0, v11
	v_cndmask_b32_e32 v10, v15, v13, vcc_lo
	v_cndmask_b32_e32 v11, v14, v12, vcc_lo
	v_cmp_ne_u32_e32 vcc_lo, 0, v9
	v_cndmask_b32_e32 v69, v6, v10, vcc_lo
	v_cndmask_b32_e32 v68, v4, v11, vcc_lo
.LBB0_4:                                ;   in Loop: Header=BB0_2 Depth=1
	s_andn2_saveexec_b32 s0, s1
	s_cbranch_execz .LBB0_6
; %bb.5:                                ;   in Loop: Header=BB0_2 Depth=1
	v_cvt_f32_u32_e32 v4, s24
	s_sub_i32 s1, 0, s24
	v_mov_b32_e32 v69, v5
	v_rcp_iflag_f32_e32 v4, v4
	v_mul_f32_e32 v4, 0x4f7ffffe, v4
	v_cvt_u32_f32_e32 v4, v4
	v_mul_lo_u32 v6, s1, v4
	v_mul_hi_u32 v6, v4, v6
	v_add_nc_u32_e32 v4, v4, v6
	v_mul_hi_u32 v4, v7, v4
	v_mul_lo_u32 v6, v4, s24
	v_add_nc_u32_e32 v9, 1, v4
	v_sub_nc_u32_e32 v6, v7, v6
	v_subrev_nc_u32_e32 v10, s24, v6
	v_cmp_le_u32_e32 vcc_lo, s24, v6
	v_cndmask_b32_e32 v6, v6, v10, vcc_lo
	v_cndmask_b32_e32 v4, v4, v9, vcc_lo
	v_cmp_le_u32_e32 vcc_lo, s24, v6
	v_add_nc_u32_e32 v9, 1, v4
	v_cndmask_b32_e32 v68, v4, v9, vcc_lo
.LBB0_6:                                ;   in Loop: Header=BB0_2 Depth=1
	s_or_b32 exec_lo, exec_lo, s0
	v_mul_lo_u32 v4, v69, s24
	v_mul_lo_u32 v6, v68, s25
	s_load_dwordx2 s[0:1], s[6:7], 0x0
	v_mad_u64_u32 v[9:10], null, v68, s24, 0
	s_load_dwordx2 s[24:25], s[2:3], 0x0
	s_add_u32 s22, s22, 1
	s_addc_u32 s23, s23, 0
	s_add_u32 s2, s2, 8
	s_addc_u32 s3, s3, 0
	s_add_u32 s6, s6, 8
	v_add3_u32 v4, v10, v6, v4
	v_sub_co_u32 v6, vcc_lo, v7, v9
	s_addc_u32 s7, s7, 0
	s_add_u32 s20, s20, 8
	v_sub_co_ci_u32_e32 v4, vcc_lo, v8, v4, vcc_lo
	s_addc_u32 s21, s21, 0
	s_waitcnt lgkmcnt(0)
	v_mul_lo_u32 v7, s0, v4
	v_mul_lo_u32 v8, s1, v6
	v_mad_u64_u32 v[1:2], null, s0, v6, v[1:2]
	v_mul_lo_u32 v4, s24, v4
	v_mul_lo_u32 v9, s25, v6
	v_mad_u64_u32 v[64:65], null, s24, v6, v[64:65]
	v_cmp_ge_u64_e64 s0, s[22:23], s[14:15]
	v_add3_u32 v2, v8, v2, v7
	v_add3_u32 v65, v9, v65, v4
	s_and_b32 vcc_lo, exec_lo, s0
	s_cbranch_vccnz .LBB0_8
; %bb.7:                                ;   in Loop: Header=BB0_2 Depth=1
	v_mov_b32_e32 v7, v68
	v_mov_b32_e32 v8, v69
	s_branch .LBB0_2
.LBB0_8:
	s_load_dwordx2 s[0:1], s[4:5], 0x28
	v_mul_hi_u32 v4, 0xaaaaaaab, v3
	s_lshl_b64 s[4:5], s[14:15], 3
                                        ; implicit-def: $vgpr66
	s_add_u32 s2, s18, s4
	s_addc_u32 s3, s19, s5
	v_lshrrev_b32_e32 v4, 1, v4
	v_lshl_add_u32 v5, v4, 1, v4
	v_mul_hi_u32 v4, 0xf0f0f10, v0
	v_sub_nc_u32_e32 v3, v3, v5
	s_waitcnt lgkmcnt(0)
	v_cmp_gt_u64_e32 vcc_lo, s[0:1], v[68:69]
	v_cmp_le_u64_e64 s0, s[0:1], v[68:69]
	s_and_saveexec_b32 s1, s0
	s_xor_b32 s0, exec_lo, s1
; %bb.9:
	v_mul_u32_u24_e32 v1, 17, v4
                                        ; implicit-def: $vgpr4
	v_sub_nc_u32_e32 v66, v0, v1
                                        ; implicit-def: $vgpr0
                                        ; implicit-def: $vgpr1_vgpr2
; %bb.10:
	s_or_saveexec_b32 s1, s0
	s_load_dwordx2 s[2:3], s[2:3], 0x0
	v_mul_u32_u24_e32 v3, 0x199, v3
	v_lshlrev_b32_e32 v76, 3, v3
	s_xor_b32 exec_lo, exec_lo, s1
	s_cbranch_execz .LBB0_14
; %bb.11:
	s_add_u32 s4, s16, s4
	s_addc_u32 s5, s17, s5
	v_lshlrev_b64 v[1:2], 3, v[1:2]
	s_load_dwordx2 s[4:5], s[4:5], 0x0
	s_waitcnt lgkmcnt(0)
	v_mul_lo_u32 v7, s5, v68
	v_mul_lo_u32 v8, s4, v69
	v_mad_u64_u32 v[5:6], null, s4, v68, 0
	s_mov_b32 s4, exec_lo
	v_add3_u32 v6, v6, v8, v7
	v_mul_u32_u24_e32 v7, 17, v4
	v_lshlrev_b64 v[4:5], 3, v[5:6]
	v_sub_nc_u32_e32 v66, v0, v7
	v_lshlrev_b32_e32 v52, 3, v66
	v_add_co_u32 v0, s0, s8, v4
	v_add_co_ci_u32_e64 v4, s0, s9, v5, s0
	v_add_co_u32 v0, s0, v0, v1
	v_add_co_ci_u32_e64 v1, s0, v4, v2, s0
	v_add3_u32 v2, 0, v76, v52
	v_add_co_u32 v4, s0, v0, v52
	v_add_co_ci_u32_e64 v5, s0, 0, v1, s0
	s_clause 0xb
	global_load_dwordx2 v[6:7], v[4:5], off
	global_load_dwordx2 v[8:9], v[4:5], off offset:136
	global_load_dwordx2 v[10:11], v[4:5], off offset:272
	;; [unrolled: 1-line block ×11, first 2 shown]
	v_add_co_u32 v30, s0, 0x800, v4
	v_add_co_ci_u32_e64 v31, s0, 0, v5, s0
	s_clause 0xb
	global_load_dwordx2 v[32:33], v[4:5], off offset:1632
	global_load_dwordx2 v[34:35], v[4:5], off offset:1768
	;; [unrolled: 1-line block ×12, first 2 shown]
	v_add_nc_u32_e32 v52, 0x800, v2
	s_waitcnt vmcnt(22)
	ds_write2_b64 v2, v[6:7], v[8:9] offset1:17
	s_waitcnt vmcnt(20)
	ds_write2_b64 v2, v[10:11], v[12:13] offset0:34 offset1:51
	s_waitcnt vmcnt(18)
	ds_write2_b64 v2, v[14:15], v[16:17] offset0:68 offset1:85
	;; [unrolled: 2-line block ×11, first 2 shown]
	v_cmpx_eq_u32_e32 16, v66
	s_cbranch_execz .LBB0_13
; %bb.12:
	v_add_co_u32 v0, s0, 0x800, v0
	v_add_co_ci_u32_e64 v1, s0, 0, v1, s0
	v_mov_b32_e32 v66, 16
	global_load_dwordx2 v[0:1], v[0:1], off offset:1216
	s_waitcnt vmcnt(0)
	ds_write_b64 v2, v[0:1] offset:3136
.LBB0_13:
	s_or_b32 exec_lo, exec_lo, s4
.LBB0_14:
	s_or_b32 exec_lo, exec_lo, s1
	v_lshl_add_u32 v74, v3, 3, 0
	v_lshlrev_b32_e32 v0, 3, v66
	s_waitcnt lgkmcnt(0)
	s_barrier
	buffer_gl0_inv
	s_add_u32 s1, s12, 0xc38
	v_add_nc_u32_e32 v75, v74, v0
	v_sub_nc_u32_e32 v4, v74, v0
	s_addc_u32 s4, s13, 0
	s_mov_b32 s5, exec_lo
	ds_read_b32 v5, v75
	ds_read_b32 v6, v4 offset:3264
                                        ; implicit-def: $vgpr2_vgpr3
	s_waitcnt lgkmcnt(0)
	v_add_f32_e32 v0, v6, v5
	v_sub_f32_e32 v1, v5, v6
	v_cmpx_ne_u32_e32 0, v66
	s_xor_b32 s5, exec_lo, s5
	s_cbranch_execz .LBB0_16
; %bb.15:
	v_mov_b32_e32 v67, 0
	v_add_f32_e32 v7, v6, v5
	v_sub_f32_e32 v8, v5, v6
	v_lshlrev_b64 v[0:1], 3, v[66:67]
	v_add_co_u32 v0, s0, s1, v0
	v_add_co_ci_u32_e64 v1, s0, s4, v1, s0
	global_load_dwordx2 v[2:3], v[0:1], off
	ds_read_b32 v0, v4 offset:3268
	ds_read_b32 v1, v75 offset:4
	s_waitcnt lgkmcnt(0)
	v_add_f32_e32 v9, v0, v1
	v_sub_f32_e32 v0, v1, v0
	s_waitcnt vmcnt(0)
	v_fma_f32 v5, -v8, v3, v7
	v_fma_f32 v6, v9, v3, -v0
	v_fma_f32 v10, v8, v3, v7
	v_fma_f32 v1, v9, v3, v0
	v_fmac_f32_e32 v5, v2, v9
	v_fmac_f32_e32 v6, v8, v2
	v_fma_f32 v0, -v2, v9, v10
	v_fmac_f32_e32 v1, v8, v2
	v_mov_b32_e32 v2, v66
	v_mov_b32_e32 v3, v67
	ds_write_b64 v4, v[5:6] offset:3264
.LBB0_16:
	s_andn2_saveexec_b32 s0, s5
	s_cbranch_execz .LBB0_18
; %bb.17:
	ds_read_b64 v[2:3], v74 offset:1632
	s_waitcnt lgkmcnt(0)
	v_add_f32_e32 v5, v2, v2
	v_mul_f32_e32 v6, -2.0, v3
	v_mov_b32_e32 v2, 0
	v_mov_b32_e32 v3, 0
	ds_write_b64 v74, v[5:6] offset:1632
.LBB0_18:
	s_or_b32 exec_lo, exec_lo, s0
	v_lshlrev_b64 v[2:3], 3, v[2:3]
	v_add_co_u32 v2, s0, s1, v2
	v_add_co_ci_u32_e64 v3, s0, s4, v3, s0
	s_mov_b32 s1, exec_lo
	s_clause 0x6
	global_load_dwordx2 v[5:6], v[2:3], off offset:136
	global_load_dwordx2 v[7:8], v[2:3], off offset:272
	;; [unrolled: 1-line block ×7, first 2 shown]
	ds_write_b64 v75, v[0:1]
	ds_read_b64 v[0:1], v75 offset:136
	ds_read_b64 v[19:20], v4 offset:3128
	global_load_dwordx2 v[21:22], v[2:3], off offset:1088
	s_waitcnt lgkmcnt(0)
	v_add_f32_e32 v23, v0, v19
	v_add_f32_e32 v24, v20, v1
	v_sub_f32_e32 v25, v0, v19
	v_sub_f32_e32 v0, v1, v20
	s_waitcnt vmcnt(7)
	v_fma_f32 v26, v25, v6, v23
	v_fma_f32 v1, v24, v6, v0
	v_fma_f32 v19, -v25, v6, v23
	v_fma_f32 v20, v24, v6, -v0
	v_fma_f32 v0, -v5, v24, v26
	v_fmac_f32_e32 v1, v25, v5
	v_fmac_f32_e32 v19, v5, v24
	v_fmac_f32_e32 v20, v25, v5
	ds_write_b64 v75, v[0:1] offset:136
	ds_write_b64 v4, v[19:20] offset:3128
	ds_read_b64 v[0:1], v75 offset:272
	ds_read_b64 v[5:6], v4 offset:2992
	global_load_dwordx2 v[19:20], v[2:3], off offset:1224
	s_waitcnt lgkmcnt(0)
	v_add_f32_e32 v23, v0, v5
	v_add_f32_e32 v24, v6, v1
	v_sub_f32_e32 v25, v0, v5
	v_sub_f32_e32 v0, v1, v6
	s_waitcnt vmcnt(7)
	v_fma_f32 v26, v25, v8, v23
	v_fma_f32 v1, v24, v8, v0
	v_fma_f32 v5, -v25, v8, v23
	v_fma_f32 v6, v24, v8, -v0
	v_fma_f32 v0, -v7, v24, v26
	v_fmac_f32_e32 v1, v25, v7
	v_fmac_f32_e32 v5, v7, v24
	v_fmac_f32_e32 v6, v25, v7
	ds_write_b64 v75, v[0:1] offset:272
	ds_write_b64 v4, v[5:6] offset:2992
	;; [unrolled: 19-line block ×4, first 2 shown]
	ds_read_b64 v[2:3], v75 offset:680
	ds_read_b64 v[5:6], v4 offset:2584
	s_waitcnt lgkmcnt(0)
	v_add_f32_e32 v9, v2, v5
	v_add_f32_e32 v10, v6, v3
	v_sub_f32_e32 v11, v2, v5
	v_sub_f32_e32 v2, v3, v6
	s_waitcnt vmcnt(6)
	v_fma_f32 v12, v11, v14, v9
	v_fma_f32 v3, v10, v14, v2
	v_fma_f32 v5, -v11, v14, v9
	v_fma_f32 v6, v10, v14, -v2
	v_fma_f32 v2, -v13, v10, v12
	v_fmac_f32_e32 v3, v11, v13
	v_fmac_f32_e32 v5, v13, v10
	v_fmac_f32_e32 v6, v11, v13
	ds_write_b64 v75, v[2:3] offset:680
	ds_write_b64 v4, v[5:6] offset:2584
	ds_read_b64 v[2:3], v75 offset:816
	ds_read_b64 v[5:6], v4 offset:2448
	s_waitcnt lgkmcnt(0)
	v_add_f32_e32 v9, v2, v5
	v_add_f32_e32 v10, v6, v3
	v_sub_f32_e32 v11, v2, v5
	v_sub_f32_e32 v2, v3, v6
	s_waitcnt vmcnt(5)
	v_fma_f32 v12, v11, v16, v9
	v_fma_f32 v3, v10, v16, v2
	v_fma_f32 v5, -v11, v16, v9
	v_fma_f32 v6, v10, v16, -v2
	v_fma_f32 v2, -v15, v10, v12
	v_fmac_f32_e32 v3, v11, v15
	v_fmac_f32_e32 v5, v15, v10
	v_fmac_f32_e32 v6, v11, v15
	ds_write_b64 v75, v[2:3] offset:816
	ds_write_b64 v4, v[5:6] offset:2448
	;; [unrolled: 18-line block ×3, first 2 shown]
	ds_read_b64 v[2:3], v75 offset:1088
	ds_read_b64 v[5:6], v4 offset:2176
	s_waitcnt lgkmcnt(0)
	v_add_f32_e32 v9, v2, v5
	v_add_f32_e32 v10, v6, v3
	v_sub_f32_e32 v11, v2, v5
	v_sub_f32_e32 v2, v3, v6
	s_waitcnt vmcnt(3)
	v_fma_f32 v12, v11, v22, v9
	v_fma_f32 v3, v10, v22, v2
	v_fma_f32 v5, -v11, v22, v9
	v_fma_f32 v6, v10, v22, -v2
	v_xor_b32_e32 v9, 0xff, v66
	v_fma_f32 v2, -v21, v10, v12
	v_fmac_f32_e32 v3, v11, v21
	v_fmac_f32_e32 v5, v21, v10
	;; [unrolled: 1-line block ×3, first 2 shown]
	v_lshl_add_u32 v9, v9, 3, v74
	ds_write_b64 v75, v[2:3] offset:1088
	ds_write_b64 v4, v[5:6] offset:2176
	ds_read_b64 v[2:3], v75 offset:1224
	ds_read_b64 v[5:6], v9
	s_waitcnt lgkmcnt(0)
	v_add_f32_e32 v10, v2, v5
	v_add_f32_e32 v11, v6, v3
	v_sub_f32_e32 v12, v2, v5
	v_sub_f32_e32 v2, v3, v6
	s_waitcnt vmcnt(2)
	v_fma_f32 v13, v12, v20, v10
	v_fma_f32 v3, v11, v20, v2
	v_fma_f32 v5, -v12, v20, v10
	v_fma_f32 v6, v11, v20, -v2
	v_fma_f32 v2, -v19, v11, v13
	v_fmac_f32_e32 v3, v12, v19
	v_fmac_f32_e32 v5, v19, v11
	;; [unrolled: 1-line block ×3, first 2 shown]
	ds_write_b64 v75, v[2:3] offset:1224
	ds_write_b64 v9, v[5:6]
	ds_read_b64 v[2:3], v75 offset:1360
	ds_read_b64 v[5:6], v4 offset:1904
	s_waitcnt lgkmcnt(0)
	v_add_f32_e32 v9, v2, v5
	v_add_f32_e32 v10, v6, v3
	v_sub_f32_e32 v11, v2, v5
	v_sub_f32_e32 v2, v3, v6
	s_waitcnt vmcnt(1)
	v_fma_f32 v12, v11, v8, v9
	v_fma_f32 v3, v10, v8, v2
	v_fma_f32 v5, -v11, v8, v9
	v_fma_f32 v6, v10, v8, -v2
	v_fma_f32 v2, -v7, v10, v12
	v_fmac_f32_e32 v3, v11, v7
	v_fmac_f32_e32 v5, v7, v10
	v_fmac_f32_e32 v6, v11, v7
	ds_write_b64 v75, v[2:3] offset:1360
	ds_write_b64 v4, v[5:6] offset:1904
	ds_read_b64 v[6:7], v75 offset:1496
	ds_read_b64 v[8:9], v4 offset:1768
	s_waitcnt lgkmcnt(0)
	v_add_f32_e32 v5, v6, v8
	v_add_f32_e32 v2, v9, v7
	v_sub_f32_e32 v3, v6, v8
	v_sub_f32_e32 v6, v7, v9
	v_lshl_add_u32 v7, v66, 3, 0
	v_mul_u32_u24_e32 v9, 0x88, v66
	s_waitcnt vmcnt(0)
	v_fma_f32 v10, v3, v1, v5
	v_fma_f32 v8, v2, v1, v6
	v_fma_f32 v5, -v3, v1, v5
	v_fma_f32 v6, v2, v1, -v6
	v_add_nc_u32_e32 v67, v7, v76
	v_fma_f32 v7, -v0, v2, v10
	v_fmac_f32_e32 v8, v3, v0
	v_fmac_f32_e32 v5, v0, v2
	;; [unrolled: 1-line block ×3, first 2 shown]
	v_add_nc_u32_e32 v77, 0x800, v67
	v_add3_u32 v78, 0, v9, v76
	ds_write_b64 v75, v[7:8] offset:1496
	ds_write_b64 v4, v[5:6] offset:1768
	s_waitcnt lgkmcnt(0)
	s_barrier
	buffer_gl0_inv
	s_barrier
	buffer_gl0_inv
	ds_read2_b64 v[0:3], v67 offset0:17 offset1:24
	ds_read2_b64 v[4:7], v77 offset0:121 offset1:128
	;; [unrolled: 1-line block ×16, first 2 shown]
	ds_read_b64 v[72:73], v75
	ds_read_b64 v[70:71], v67 offset:3208
	s_waitcnt lgkmcnt(0)
	s_barrier
	buffer_gl0_inv
	v_sub_f32_e32 v118, v3, v7
	v_add_f32_e32 v93, v6, v2
	v_add_f32_e32 v115, v7, v3
	v_sub_f32_e32 v122, v63, v11
	v_sub_f32_e32 v125, v59, v15
	v_mul_f32_e32 v137, 0xbf2c7751, v118
	v_sub_f32_e32 v94, v2, v6
	v_add_f32_e32 v91, v10, v62
	v_add_f32_e32 v156, v23, v51
	v_add_f32_e32 v117, v11, v63
	v_add_f32_e32 v121, v15, v59
	v_sub_f32_e32 v126, v55, v19
	v_sub_f32_e32 v157, v47, v27
	v_add_f32_e32 v158, v27, v47
	v_mul_f32_e32 v131, 0x3f3d2fb0, v115
	v_mul_f32_e32 v132, 0xbf7ee86f, v122
	;; [unrolled: 1-line block ×20, first 2 shown]
	v_fmamk_f32 v156, v93, 0x3f3d2fb0, v137
	v_sub_f32_e32 v92, v62, v10
	v_sub_f32_e32 v159, v43, v31
	v_mul_f32_e32 v127, 0x3dbcf732, v117
	v_mul_f32_e32 v123, 0xbf1a4643, v121
	;; [unrolled: 1-line block ×39, first 2 shown]
	v_fmamk_f32 v157, v94, 0x3f2c7751, v131
	v_fmamk_f32 v158, v91, 0x3dbcf732, v132
	;; [unrolled: 1-line block ×4, first 2 shown]
	v_add_f32_e32 v156, v72, v156
	v_add_f32_e32 v89, v14, v58
	v_mul_f32_e32 v113, 0x3f65296c, v159
	v_mul_f32_e32 v105, 0xbf1a4643, v117
	;; [unrolled: 1-line block ×18, first 2 shown]
	v_fmamk_f32 v159, v92, 0x3f7ee86f, v127
	v_fmamk_f32 v231, v91, 0xbf1a4643, v110
	;; [unrolled: 1-line block ×6, first 2 shown]
	v_add_f32_e32 v157, v73, v157
	v_add_f32_e32 v156, v158, v156
	v_fmamk_f32 v158, v93, 0xbf1a4643, v182
	v_add_f32_e32 v230, v72, v230
	v_add_f32_e32 v247, v72, v247
	v_sub_f32_e32 v90, v58, v14
	v_mul_f32_e32 v185, 0xbe8c1d8e, v117
	v_mul_f32_e32 v201, 0x3ee437d1, v117
	;; [unrolled: 1-line block ×3, first 2 shown]
	v_fmamk_f32 v233, v92, 0x3f4c4adb, v105
	v_fmamk_f32 v236, v89, 0xbf7ba420, v106
	;; [unrolled: 1-line block ×4, first 2 shown]
	v_add_f32_e32 v232, v73, v232
	v_add_f32_e32 v157, v159, v157
	v_fmamk_f32 v159, v94, 0x3f4c4adb, v183
	v_add_f32_e32 v230, v231, v230
	v_fmamk_f32 v231, v91, 0xbe8c1d8e, v184
	v_add_f32_e32 v245, v73, v245
	v_add_f32_e32 v249, v73, v249
	;; [unrolled: 1-line block ×4, first 2 shown]
	v_fmamk_f32 v248, v94, 0x3f06c442, v200
	v_mul_f32_e32 v165, 0xbf7ee86f, v118
	v_mul_f32_e32 v216, 0xbf7ba420, v115
	v_add_f32_e32 v232, v233, v232
	v_fmamk_f32 v233, v92, 0xbf763a35, v185
	v_add_f32_e32 v245, v246, v245
	v_add_f32_e32 v249, v250, v249
	v_fmamk_f32 v250, v92, 0xbf65296c, v201
	v_add_f32_e32 v159, v73, v159
	;; [unrolled: 3-line block ×3, first 2 shown]
	v_add_f32_e32 v230, v236, v230
	v_fmamk_f32 v236, v90, 0xbf763a35, v170
	v_sub_f32_e32 v161, v39, v35
	v_mul_f32_e32 v217, 0x3f6eb680, v117
	v_fmamk_f32 v243, v93, 0x3dbcf732, v165
	v_add_f32_e32 v159, v233, v159
	v_fmamk_f32 v233, v91, 0x3f6eb680, v215
	v_add_f32_e32 v231, v72, v231
	v_add_f32_e32 v248, v250, v248
	v_fmamk_f32 v250, v94, 0x3e3c28d5, v216
	v_add_f32_e32 v236, v236, v245
	v_fmamk_f32 v245, v89, 0x3f6eb680, v186
	v_add_f32_e32 v129, v19, v55
	v_add_f32_e32 v163, v72, v2
	;; [unrolled: 1-line block ×3, first 2 shown]
	v_mul_f32_e32 v107, 0x3eb8f4ab, v161
	v_mul_f32_e32 v96, 0xbf06c442, v161
	v_mul_f32_e32 v152, 0x3f2c7751, v161
	v_mul_f32_e32 v143, 0xbf4c4adb, v161
	v_mul_f32_e32 v196, 0x3f65296c, v161
	v_mul_f32_e32 v198, 0xbf06c442, v118
	v_mul_f32_e32 v212, 0xbf763a35, v161
	v_mul_f32_e32 v228, 0x3f7ee86f, v161
	v_mul_f32_e32 v141, 0xbeb8f4ab, v118
	v_mul_f32_e32 v118, 0xbe3c28d5, v161
	v_fmamk_f32 v161, v90, 0x3f4c4adb, v123
	v_fmamk_f32 v237, v90, 0xbe3c28d5, v103
	;; [unrolled: 1-line block ×3, first 2 shown]
	v_add_f32_e32 v243, v72, v243
	v_add_f32_e32 v231, v233, v231
	v_fmamk_f32 v233, v92, 0xbeb8f4ab, v217
	v_fmac_f32_e32 v216, 0xbe3c28d5, v94
	v_add_f32_e32 v250, v73, v250
	v_fma_f32 v182, 0xbf1a4643, v93, -v182
	v_add_f32_e32 v158, v245, v158
	v_fmamk_f32 v245, v90, 0x3f7ee86f, v203
	v_sub_f32_e32 v88, v54, v18
	v_mul_f32_e32 v172, 0x3f6eb680, v129
	v_add_f32_e32 v62, v163, v62
	v_add_f32_e32 v63, v164, v63
	;; [unrolled: 1-line block ×3, first 2 shown]
	v_fmamk_f32 v244, v93, 0xbf59a7d5, v198
	v_fmac_f32_e32 v217, 0x3eb8f4ab, v92
	v_add_f32_e32 v216, v73, v216
	v_add_f32_e32 v233, v233, v250
	v_fma_f32 v184, 0xbe8c1d8e, v91, -v184
	v_fmac_f32_e32 v183, 0xbf4c4adb, v94
	v_add_f32_e32 v182, v72, v182
	v_fmac_f32_e32 v200, 0xbf06c442, v94
	v_add_f32_e32 v157, v161, v157
	v_fmamk_f32 v161, v89, 0xbe8c1d8e, v169
	v_add_f32_e32 v232, v237, v232
	v_fmamk_f32 v237, v89, 0x3f3d2fb0, v181
	;; [unrolled: 2-line block ×3, first 2 shown]
	v_add_f32_e32 v87, v18, v54
	v_mul_f32_e32 v101, 0xbe8c1d8e, v129
	v_mul_f32_e32 v149, 0x3ee437d1, v129
	;; [unrolled: 1-line block ×3, first 2 shown]
	v_fmamk_f32 v246, v91, 0x3ee437d1, v199
	v_add_f32_e32 v244, v72, v244
	v_fma_f32 v214, 0xbf7ba420, v93, -v214
	v_add_f32_e32 v216, v217, v216
	v_fmac_f32_e32 v185, 0x3f763a35, v92
	v_fma_f32 v198, 0xbf59a7d5, v93, -v198
	v_fmac_f32_e32 v201, 0x3f65296c, v92
	v_add_f32_e32 v183, v73, v183
	v_add_f32_e32 v182, v184, v182
	v_fmamk_f32 v184, v93, 0x3f6eb680, v141
	v_add_f32_e32 v200, v73, v200
	v_add_f32_e32 v161, v161, v243
	v_fmamk_f32 v243, v90, 0xbf2c7751, v153
	v_add_f32_e32 v237, v237, v247
	v_fmamk_f32 v247, v90, 0x3eb8f4ab, v187
	v_fmac_f32_e32 v219, 0xbf06c442, v90
	v_add_f32_e32 v233, v248, v233
	v_fmamk_f32 v248, v88, 0xbeb8f4ab, v172
	v_fma_f32 v186, 0x3f6eb680, v89, -v186
	v_add_f32_e32 v58, v62, v58
	v_add_f32_e32 v59, v63, v59
	v_sub_f32_e32 v130, v51, v23
	v_sub_f32_e32 v86, v50, v22
	v_add_f32_e32 v160, v31, v43
	v_mul_f32_e32 v189, 0xbf59a7d5, v129
	v_mul_f32_e32 v205, 0xbf1a4643, v129
	;; [unrolled: 1-line block ×3, first 2 shown]
	v_fmamk_f32 v241, v88, 0xbf763a35, v101
	v_add_f32_e32 v244, v246, v244
	v_fma_f32 v215, 0x3f6eb680, v91, -v215
	v_add_f32_e32 v214, v72, v214
	v_fma_f32 v199, 0x3ee437d1, v91, -v199
	v_add_f32_e32 v198, v72, v198
	v_add_f32_e32 v183, v185, v183
	v_fmamk_f32 v185, v91, 0x3f3d2fb0, v138
	v_add_f32_e32 v184, v72, v184
	v_add_f32_e32 v200, v201, v200
	v_fmamk_f32 v201, v94, 0x3eb8f4ab, v139
	v_add_f32_e32 v243, v243, v249
	v_fmamk_f32 v249, v89, 0x3dbcf732, v202
	;; [unrolled: 2-line block ×5, first 2 shown]
	v_fmac_f32_e32 v203, 0xbf7ee86f, v90
	v_add_f32_e32 v236, v248, v236
	v_fmamk_f32 v248, v87, 0xbf59a7d5, v188
	v_add_f32_e32 v54, v58, v54
	v_add_f32_e32 v55, v59, v55
	v_add_f32_e32 v85, v22, v50
	v_add_f32_e32 v162, v35, v39
	v_mul_f32_e32 v119, 0xbf7ba420, v129
	v_mul_f32_e32 v108, 0x3ee437d1, v160
	v_mul_f32_e32 v95, 0x3dbcf732, v160
	v_mul_f32_e32 v173, 0xbf65296c, v130
	v_mul_f32_e32 v151, 0xbf1a4643, v160
	v_mul_f32_e32 v142, 0x3f6eb680, v160
	v_mul_f32_e32 v195, 0xbf7ba420, v160
	v_mul_f32_e32 v206, 0xbeb8f4ab, v130
	v_mul_f32_e32 v211, 0x3f3d2fb0, v160
	v_mul_f32_e32 v221, 0x3f3d2fb0, v129
	v_mul_f32_e32 v227, 0xbe8c1d8e, v160
	v_mul_f32_e32 v117, 0xbf59a7d5, v160
	v_fmamk_f32 v160, v89, 0xbf1a4643, v128
	v_add_f32_e32 v214, v215, v214
	v_fmamk_f32 v215, v86, 0xbf2c7751, v99
	v_add_f32_e32 v198, v199, v198
	v_fma_f32 v165, 0x3dbcf732, v93, -v165
	v_add_f32_e32 v184, v185, v184
	v_fmamk_f32 v185, v92, 0x3f2c7751, v135
	v_fmac_f32_e32 v167, 0xbf7ee86f, v94
	v_add_f32_e32 v201, v73, v201
	v_add_f32_e32 v244, v249, v244
	v_fma_f32 v218, 0xbf59a7d5, v89, -v218
	v_add_f32_e32 v231, v247, v231
	v_fmamk_f32 v247, v87, 0x3f6eb680, v171
	v_fmac_f32_e32 v187, 0xbeb8f4ab, v90
	v_fma_f32 v202, 0x3dbcf732, v89, -v202
	v_add_f32_e32 v200, v203, v200
	v_add_f32_e32 v232, v241, v232
	;; [unrolled: 1-line block ×3, first 2 shown]
	v_fmamk_f32 v237, v88, 0x3f06c442, v189
	v_add_f32_e32 v186, v186, v243
	v_fmamk_f32 v243, v87, 0xbf1a4643, v204
	v_add_f32_e32 v158, v248, v158
	v_fmamk_f32 v248, v88, 0xbf4c4adb, v205
	v_fmac_f32_e32 v205, 0x3f4c4adb, v88
	v_add_f32_e32 v50, v54, v50
	v_add_f32_e32 v51, v55, v51
	;; [unrolled: 1-line block ×3, first 2 shown]
	v_sub_f32_e32 v84, v46, v26
	v_mul_f32_e32 v120, 0x3f06c442, v130
	v_mul_f32_e32 v2, 0x3f6eb680, v162
	;; [unrolled: 1-line block ×13, first 2 shown]
	v_fmamk_f32 v162, v87, 0xbf7ba420, v124
	v_fmamk_f32 v163, v88, 0x3e3c28d5, v119
	;; [unrolled: 1-line block ×3, first 2 shown]
	v_fma_f32 v166, 0xbf7ba420, v91, -v166
	v_add_f32_e32 v165, v72, v165
	v_fmac_f32_e32 v168, 0xbe3c28d5, v92
	v_add_f32_e32 v167, v73, v167
	v_add_f32_e32 v185, v185, v201
	;; [unrolled: 1-line block ×4, first 2 shown]
	v_fmamk_f32 v218, v85, 0x3ee437d1, v173
	v_add_f32_e32 v183, v187, v183
	v_fmamk_f32 v187, v89, 0x3ee437d1, v136
	v_add_f32_e32 v198, v202, v198
	;; [unrolled: 2-line block ×3, first 2 shown]
	v_add_f32_e32 v159, v237, v159
	v_fmamk_f32 v237, v87, 0x3f3d2fb0, v220
	v_add_f32_e32 v243, v243, v244
	v_add_f32_e32 v245, v248, v245
	v_fmamk_f32 v248, v88, 0xbf2c7751, v221
	v_fma_f32 v188, 0xbf59a7d5, v87, -v188
	v_fmac_f32_e32 v189, 0xbf06c442, v88
	v_fma_f32 v204, 0xbf1a4643, v87, -v204
	v_add_f32_e32 v200, v205, v200
	v_fmamk_f32 v205, v86, 0xbf7ee86f, v191
	v_add_f32_e32 v215, v215, v232
	v_fmamk_f32 v232, v85, 0x3f6eb680, v206
	v_add_f32_e32 v46, v50, v46
	v_add_f32_e32 v47, v51, v47
	;; [unrolled: 1-line block ×3, first 2 shown]
	v_sub_f32_e32 v82, v42, v30
	v_mul_f32_e32 v150, 0xbe3c28d5, v130
	v_mul_f32_e32 v130, 0xbf763a35, v130
	v_fmamk_f32 v164, v85, 0xbf59a7d5, v120
	v_fmamk_f32 v234, v86, 0xbf06c442, v114
	;; [unrolled: 1-line block ×3, first 2 shown]
	v_add_f32_e32 v165, v166, v165
	v_add_f32_e32 v167, v168, v167
	v_fmamk_f32 v202, v86, 0x3f65296c, v174
	v_fma_f32 v169, 0xbe8c1d8e, v89, -v169
	v_add_f32_e32 v184, v187, v184
	v_fmac_f32_e32 v170, 0x3f763a35, v90
	v_add_f32_e32 v185, v203, v185
	v_add_f32_e32 v156, v162, v156
	;; [unrolled: 1-line block ×5, first 2 shown]
	v_fmac_f32_e32 v221, 0x3f2c7751, v88
	v_add_f32_e32 v233, v248, v233
	v_add_f32_e32 v182, v188, v182
	v_fmamk_f32 v188, v85, 0x3dbcf732, v190
	v_add_f32_e32 v183, v189, v183
	v_fmamk_f32 v189, v87, 0x3dbcf732, v134
	;; [unrolled: 2-line block ×6, first 2 shown]
	v_fma_f32 v190, 0x3dbcf732, v85, -v190
	v_fmac_f32_e32 v191, 0x3f7ee86f, v86
	v_fmac_f32_e32 v207, 0xbeb8f4ab, v86
	v_add_f32_e32 v42, v46, v42
	v_add_f32_e32 v43, v47, v43
	;; [unrolled: 1-line block ×3, first 2 shown]
	v_sub_f32_e32 v80, v38, v34
	v_fmamk_f32 v235, v83, 0xbe8c1d8e, v116
	v_fmamk_f32 v238, v84, 0xbf763a35, v112
	;; [unrolled: 1-line block ×4, first 2 shown]
	v_add_f32_e32 v165, v169, v165
	v_add_f32_e32 v167, v170, v167
	v_fmamk_f32 v170, v84, 0x3f06c442, v176
	v_add_f32_e32 v216, v221, v216
	v_fma_f32 v171, 0x3f6eb680, v87, -v171
	v_add_f32_e32 v184, v189, v184
	v_fmamk_f32 v189, v83, 0x3f3d2fb0, v192
	v_add_f32_e32 v185, v204, v185
	v_fmamk_f32 v204, v84, 0x3f2c7751, v193
	v_add_f32_e32 v156, v164, v156
	v_add_f32_e32 v157, v234, v157
	;; [unrolled: 1-line block ×7, first 2 shown]
	v_fmamk_f32 v243, v83, 0x3ee437d1, v224
	v_fmac_f32_e32 v223, 0xbf4c4adb, v86
	v_add_f32_e32 v182, v190, v182
	v_add_f32_e32 v183, v191, v183
	v_fma_f32 v192, 0x3f3d2fb0, v83, -v192
	v_fmac_f32_e32 v193, 0xbf2c7751, v84
	v_add_f32_e32 v200, v207, v200
	v_fmamk_f32 v207, v85, 0xbe8c1d8e, v130
	v_fmamk_f32 v63, v86, 0x3f763a35, v125
	v_add_f32_e32 v38, v42, v38
	v_add_f32_e32 v39, v43, v39
	v_fmamk_f32 v239, v81, 0x3ee437d1, v113
	v_fmamk_f32 v166, v81, 0x3dbcf732, v98
	;; [unrolled: 1-line block ×3, first 2 shown]
	v_add_f32_e32 v165, v171, v165
	v_fmamk_f32 v171, v81, 0xbf7ba420, v194
	v_fmamk_f32 v164, v82, 0x3e3c28d5, v195
	v_add_f32_e32 v216, v223, v216
	v_fmamk_f32 v223, v81, 0xbe8c1d8e, v226
	v_fma_f32 v194, 0xbf7ba420, v81, -v194
	v_fmac_f32_e32 v195, 0xbe3c28d5, v82
	v_add_f32_e32 v62, v207, v184
	v_add_f32_e32 v58, v63, v185
	v_fmamk_f32 v59, v83, 0xbf1a4643, v126
	v_add_f32_e32 v54, v235, v156
	v_fmamk_f32 v55, v84, 0x3f4c4adb, v121
	v_add_f32_e32 v63, v238, v157
	v_add_f32_e32 v50, v199, v230
	;; [unrolled: 1-line block ×11, first 2 shown]
	v_fmamk_f32 v203, v85, 0xbf7ba420, v150
	v_fmamk_f32 v169, v86, 0x3e3c28d5, v146
	;; [unrolled: 1-line block ×4, first 2 shown]
	v_add_f32_e32 v59, v59, v62
	v_add_f32_e32 v55, v55, v58
	;; [unrolled: 1-line block ×12, first 2 shown]
	v_fmamk_f32 v187, v83, 0xbf59a7d5, v175
	v_fmamk_f32 v163, v83, 0x3dbcf732, v147
	;; [unrolled: 1-line block ×3, first 2 shown]
	v_add_f32_e32 v203, v203, v219
	v_add_f32_e32 v169, v169, v186
	v_fmamk_f32 v242, v82, 0xbf65296c, v108
	v_add_f32_e32 v35, v249, v54
	v_add_f32_e32 v54, v191, v158
	;; [unrolled: 1-line block ×4, first 2 shown]
	v_fmamk_f32 v162, v81, 0xbf1a4643, v177
	v_fmamk_f32 v240, v82, 0xbf4c4adb, v151
	v_fma_f32 v220, 0x3f3d2fb0, v87, -v220
	v_fmamk_f32 v237, v81, 0x3f6eb680, v145
	v_fmamk_f32 v248, v82, 0x3eb8f4ab, v142
	v_add_f32_e32 v46, v187, v161
	v_add_f32_e32 v43, v163, v203
	;; [unrolled: 1-line block ×3, first 2 shown]
	v_fmamk_f32 v246, v79, 0x3f6eb680, v107
	v_fmamk_f32 v217, v80, 0xbeb8f4ab, v2
	;; [unrolled: 1-line block ×3, first 2 shown]
	v_add_f32_e32 v39, v242, v63
	v_add_f32_e32 v22, v158, v22
	;; [unrolled: 1-line block ×3, first 2 shown]
	v_fmamk_f32 v241, v79, 0x3f3d2fb0, v152
	v_fmamk_f32 v244, v80, 0xbf2c7751, v148
	v_add_f32_e32 v214, v220, v214
	v_fmamk_f32 v220, v79, 0xbf1a4643, v143
	v_fmamk_f32 v221, v80, 0x3f4c4adb, v140
	v_add_f32_e32 v46, v162, v46
	v_add_f32_e32 v42, v240, v42
	;; [unrolled: 1-line block ×4, first 2 shown]
	v_fmac_f32_e32 v172, 0x3eb8f4ab, v88
	v_add_f32_e32 v30, v246, v38
	v_add_f32_e32 v31, v217, v39
	;; [unrolled: 1-line block ×9, first 2 shown]
	ds_write2_b64 v78, v[30:31], v[34:35] offset0:2 offset1:3
	ds_write2_b64 v78, v[38:39], v[42:43] offset0:4 offset1:5
	v_fma_f32 v30, 0x3ee437d1, v85, -v173
	v_add_f32_e32 v31, v172, v167
	v_fmac_f32_e32 v174, 0xbf65296c, v86
	v_add_f32_e32 v14, v18, v14
	v_add_f32_e32 v15, v19, v15
	;; [unrolled: 1-line block ×3, first 2 shown]
	v_fma_f32 v23, 0xbf59a7d5, v83, -v175
	v_fmac_f32_e32 v176, 0xbf06c442, v84
	v_fma_f32 v18, 0xbe8c1d8e, v93, -v178
	v_add_f32_e32 v19, v174, v31
	v_add_f32_e32 v10, v14, v10
	;; [unrolled: 1-line block ×3, first 2 shown]
	v_fmac_f32_e32 v180, 0xbf763a35, v94
	v_fma_f32 v14, 0xbf1a4643, v81, -v177
	v_add_f32_e32 v15, v72, v18
	v_add_f32_e32 v6, v10, v6
	;; [unrolled: 1-line block ×5, first 2 shown]
	v_fma_f32 v18, 0xbf59a7d5, v91, -v179
	v_add_f32_e32 v19, v73, v180
	v_fmac_f32_e32 v155, 0x3f06c442, v92
	v_add_f32_e32 v10, v14, v10
	v_fmac_f32_e32 v153, 0x3f2c7751, v90
	v_add_f32_e32 v14, v18, v15
	v_fma_f32 v15, 0x3f3d2fb0, v89, -v181
	v_add_f32_e32 v18, v155, v19
	v_fma_f32 v19, 0x3f3d2fb0, v79, -v152
	v_fmac_f32_e32 v149, 0xbf65296c, v88
	v_fmac_f32_e32 v146, 0xbe3c28d5, v86
	v_add_f32_e32 v14, v15, v14
	v_fma_f32 v15, 0x3ee437d1, v87, -v154
	v_add_f32_e32 v18, v153, v18
	v_add_f32_e32 v10, v19, v10
	v_fma_f32 v19, 0x3f3d2fb0, v93, -v137
	v_fmac_f32_e32 v131, 0xbf2c7751, v94
	v_add_f32_e32 v14, v15, v14
	v_fma_f32 v15, 0xbf7ba420, v85, -v150
	v_add_f32_e32 v18, v149, v18
	v_add_f32_e32 v19, v72, v19
	v_fma_f32 v22, 0x3dbcf732, v91, -v132
	v_add_f32_e32 v23, v73, v131
	v_add_f32_e32 v14, v15, v14
	;; [unrolled: 1-line block ×3, first 2 shown]
	v_fma_f32 v18, 0x3dbcf732, v83, -v147
	v_fmac_f32_e32 v127, 0xbf7ee86f, v92
	v_fmac_f32_e32 v123, 0xbf4c4adb, v90
	;; [unrolled: 1-line block ×4, first 2 shown]
	v_add_f32_e32 v14, v18, v14
	v_add_f32_e32 v18, v22, v19
	v_fma_f32 v19, 0xbf1a4643, v89, -v128
	v_add_f32_e32 v22, v127, v23
	v_fma_f32 v23, 0x3f6eb680, v81, -v145
	v_fmac_f32_e32 v112, 0x3f763a35, v84
	v_fmac_f32_e32 v108, 0x3f65296c, v82
	v_add_f32_e32 v18, v19, v18
	v_fma_f32 v19, 0xbf7ba420, v87, -v124
	v_add_f32_e32 v22, v123, v22
	v_add_f32_e32 v14, v23, v14
	v_fma_f32 v23, 0xbf1a4643, v79, -v143
	v_fmac_f32_e32 v109, 0xbf65296c, v94
	v_add_f32_e32 v18, v19, v18
	v_fma_f32 v19, 0xbf59a7d5, v85, -v120
	v_add_f32_e32 v22, v119, v22
	v_add_f32_e32 v14, v23, v14
	v_fma_f32 v23, 0x3ee437d1, v93, -v111
	v_fma_f32 v30, 0x3f6eb680, v79, -v107
	v_add_f32_e32 v18, v19, v18
	v_fma_f32 v19, 0xbe8c1d8e, v83, -v116
	v_add_f32_e32 v22, v114, v22
	v_add_f32_e32 v31, v73, v109
	v_fmac_f32_e32 v105, 0xbf4c4adb, v92
	v_fmac_f32_e32 v139, 0xbeb8f4ab, v94
	v_add_f32_e32 v18, v19, v18
	v_fma_f32 v19, 0x3ee437d1, v81, -v113
	v_add_f32_e32 v22, v112, v22
	v_fma_f32 v35, 0x3f3d2fb0, v91, -v138
	v_add_f32_e32 v34, v73, v139
	v_fmac_f32_e32 v135, 0xbf2c7751, v92
	v_add_f32_e32 v18, v19, v18
	v_add_f32_e32 v19, v108, v22
	;; [unrolled: 1-line block ×3, first 2 shown]
	v_fma_f32 v23, 0xbf1a4643, v91, -v110
	v_fmac_f32_e32 v103, 0x3e3c28d5, v90
	v_add_f32_e32 v18, v30, v18
	v_add_f32_e32 v30, v105, v31
	v_fma_f32 v31, 0x3f6eb680, v93, -v141
	v_add_f32_e32 v22, v23, v22
	v_fma_f32 v23, 0xbf7ba420, v89, -v106
	v_fmac_f32_e32 v133, 0xbf65296c, v90
	v_add_f32_e32 v30, v103, v30
	v_add_f32_e32 v31, v72, v31
	v_fmac_f32_e32 v101, 0x3f763a35, v88
	v_add_f32_e32 v22, v23, v22
	v_fma_f32 v23, 0xbe8c1d8e, v87, -v104
	v_fmac_f32_e32 v129, 0xbf7ee86f, v88
	v_fma_f32 v222, 0xbf1a4643, v85, -v222
	v_fma_f32 v206, 0x3f6eb680, v85, -v206
	v_add_f32_e32 v30, v101, v30
	v_add_f32_e32 v22, v23, v22
	v_add_f32_e32 v23, v35, v31
	v_add_f32_e32 v31, v135, v34
	v_fma_f32 v34, 0x3ee437d1, v89, -v136
	v_fma_f32 v35, 0x3f3d2fb0, v85, -v102
	v_fmac_f32_e32 v99, 0x3f2c7751, v86
	v_fmac_f32_e32 v125, 0xbf763a35, v86
	v_add_f32_e32 v31, v133, v31
	v_add_f32_e32 v23, v34, v23
	v_fma_f32 v34, 0x3dbcf732, v87, -v134
	v_fmamk_f32 v236, v83, 0xbf7ba420, v208
	v_fmamk_f32 v219, v84, 0x3e3c28d5, v209
	v_add_f32_e32 v31, v129, v31
	v_add_f32_e32 v218, v218, v245
	v_add_f32_e32 v23, v34, v23
	v_fma_f32 v34, 0xbe8c1d8e, v85, -v130
	v_add_f32_e32 v214, v222, v214
	v_fmamk_f32 v222, v84, 0xbf65296c, v225
	v_fma_f32 v224, 0x3ee437d1, v83, -v224
	v_fmac_f32_e32 v225, 0x3f65296c, v84
	v_fmac_f32_e32 v144, 0x3f7ee86f, v84
	v_add_f32_e32 v198, v206, v198
	v_fma_f32 v208, 0xbf7ba420, v83, -v208
	v_fmac_f32_e32 v209, 0xbe3c28d5, v84
	v_add_f32_e32 v22, v35, v22
	v_add_f32_e32 v30, v99, v30
	v_fma_f32 v35, 0x3f6eb680, v83, -v100
	v_fmac_f32_e32 v97, 0xbeb8f4ab, v84
	v_add_f32_e32 v23, v34, v23
	v_add_f32_e32 v31, v125, v31
	v_fma_f32 v34, 0xbf1a4643, v83, -v126
	v_fmac_f32_e32 v121, 0xbf4c4adb, v84
	v_fmamk_f32 v186, v81, 0x3f3d2fb0, v210
	v_fmamk_f32 v188, v82, 0xbf2c7751, v211
	;; [unrolled: 1-line block ×4, first 2 shown]
	v_add_f32_e32 v163, v236, v232
	v_add_f32_e32 v169, v219, v218
	v_fmamk_f32 v190, v82, 0x3f763a35, v227
	v_fma_f32 v226, 0xbe8c1d8e, v81, -v226
	v_fmac_f32_e32 v227, 0xbf763a35, v82
	v_add_f32_e32 v187, v222, v233
	v_add_f32_e32 v189, v224, v214
	;; [unrolled: 1-line block ×3, first 2 shown]
	v_fmac_f32_e32 v151, 0x3f4c4adb, v82
	v_add_f32_e32 v15, v144, v15
	v_fmac_f32_e32 v142, 0xbeb8f4ab, v82
	v_fma_f32 v210, 0x3f3d2fb0, v81, -v210
	v_fmac_f32_e32 v211, 0x3f2c7751, v82
	v_add_f32_e32 v192, v208, v198
	v_add_f32_e32 v193, v209, v200
	;; [unrolled: 1-line block ×3, first 2 shown]
	v_fma_f32 v35, 0x3dbcf732, v81, -v98
	v_add_f32_e32 v30, v97, v30
	v_fmac_f32_e32 v95, 0xbf7ee86f, v82
	v_add_f32_e32 v23, v34, v23
	v_add_f32_e32 v31, v121, v31
	v_fma_f32 v34, 0xbf59a7d5, v81, -v122
	v_fmac_f32_e32 v117, 0xbf06c442, v82
	v_fmamk_f32 v234, v79, 0x3ee437d1, v196
	v_fmamk_f32 v250, v80, 0xbf65296c, v197
	;; [unrolled: 1-line block ×6, first 2 shown]
	v_add_f32_e32 v63, v186, v163
	v_add_f32_e32 v157, v188, v169
	;; [unrolled: 1-line block ×4, first 2 shown]
	v_fmamk_f32 v206, v80, 0xbf7ee86f, v229
	v_fma_f32 v228, 0x3dbcf732, v79, -v228
	v_fmac_f32_e32 v229, 0x3f7ee86f, v80
	v_add_f32_e32 v159, v190, v187
	v_add_f32_e32 v162, v226, v189
	;; [unrolled: 1-line block ×4, first 2 shown]
	v_fmac_f32_e32 v148, 0x3f2c7751, v80
	v_add_f32_e32 v15, v142, v15
	v_fmac_f32_e32 v140, 0xbf4c4adb, v80
	v_fma_f32 v196, 0x3ee437d1, v79, -v196
	v_fmac_f32_e32 v197, 0x3f65296c, v80
	v_fma_f32 v184, 0xbe8c1d8e, v79, -v212
	v_fmac_f32_e32 v213, 0xbf763a35, v80
	v_add_f32_e32 v168, v210, v192
	v_add_f32_e32 v169, v211, v193
	v_fmac_f32_e32 v2, 0x3eb8f4ab, v80
	v_add_f32_e32 v22, v35, v22
	v_add_f32_e32 v30, v95, v30
	v_fma_f32 v35, 0xbf59a7d5, v79, -v96
	v_fmac_f32_e32 v3, 0xbf06c442, v80
	v_add_f32_e32 v23, v34, v23
	v_add_f32_e32 v31, v117, v31
	v_fma_f32 v34, 0xbf7ba420, v79, -v118
	v_fmac_f32_e32 v115, 0xbe3c28d5, v80
	v_add_f32_e32 v46, v234, v58
	v_add_f32_e32 v47, v250, v62
	;; [unrolled: 1-line block ×20, first 2 shown]
	ds_write2_b64 v78, v[46:47], v[50:51] offset0:6 offset1:7
	ds_write2_b64 v78, v[54:55], v[58:59] offset0:8 offset1:9
	;; [unrolled: 1-line block ×3, first 2 shown]
	ds_write2_b64 v78, v[6:7], v[26:27] offset1:1
	ds_write2_b64 v78, v[14:15], v[10:11] offset0:12 offset1:13
	ds_write2_b64 v78, v[2:3], v[18:19] offset0:14 offset1:15
	ds_write_b64 v78, v[22:23] offset:128
	v_cmpx_gt_u32_e32 7, v66
	s_cbranch_execz .LBB0_20
; %bb.19:
	v_add_f32_e32 v27, v71, v61
	v_sub_f32_e32 v39, v60, v70
	v_add_f32_e32 v178, v5, v57
	v_sub_f32_e32 v31, v56, v4
	v_add_f32_e32 v173, v9, v53
	v_mul_f32_e32 v78, 0xbf7ba420, v27
	v_sub_f32_e32 v34, v52, v8
	v_mul_f32_e32 v80, 0x3f6eb680, v178
	v_add_f32_e32 v170, v13, v49
	v_mul_f32_e32 v81, 0xbf59a7d5, v173
	v_fmamk_f32 v2, v39, 0x3e3c28d5, v78
	v_sub_f32_e32 v30, v48, v12
	v_fmamk_f32 v3, v31, 0xbeb8f4ab, v80
	v_add_f32_e32 v171, v17, v45
	v_mul_f32_e32 v82, 0x3f3d2fb0, v170
	v_add_f32_e32 v2, v1, v2
	v_fmamk_f32 v6, v34, 0x3f06c442, v81
	v_sub_f32_e32 v137, v61, v71
	v_sub_f32_e32 v35, v44, v16
	v_add_f32_e32 v26, v21, v41
	v_add_f32_e32 v2, v3, v2
	;; [unrolled: 1-line block ×3, first 2 shown]
	v_mul_f32_e32 v87, 0xbf1a4643, v171
	v_fmamk_f32 v3, v30, 0xbf2c7751, v82
	v_sub_f32_e32 v138, v57, v5
	v_add_f32_e32 v2, v6, v2
	v_mul_f32_e32 v86, 0xbe3c28d5, v137
	v_sub_f32_e32 v38, v40, v20
	v_mul_f32_e32 v84, 0x3ee437d1, v26
	v_fmamk_f32 v6, v35, 0x3f4c4adb, v87
	v_add_f32_e32 v2, v3, v2
	v_add_f32_e32 v46, v4, v56
	v_mul_f32_e32 v85, 0x3eb8f4ab, v138
	v_fmamk_f32 v7, v43, 0xbf7ba420, v86
	v_sub_f32_e32 v151, v53, v9
	v_fmamk_f32 v3, v38, 0xbf65296c, v84
	v_add_f32_e32 v2, v6, v2
	v_fmamk_f32 v6, v46, 0x3f6eb680, v85
	v_add_f32_e32 v7, v0, v7
	v_add_f32_e32 v50, v8, v52
	v_mul_f32_e32 v79, 0xbf06c442, v151
	v_sub_f32_e32 v156, v49, v13
	v_add_f32_e32 v161, v25, v37
	v_add_f32_e32 v2, v3, v2
	;; [unrolled: 1-line block ×3, first 2 shown]
	v_fmamk_f32 v6, v50, 0xbf59a7d5, v79
	v_add_f32_e32 v51, v12, v48
	v_mul_f32_e32 v63, 0x3f2c7751, v156
	v_sub_f32_e32 v159, v45, v17
	v_mul_f32_e32 v83, 0xbe8c1d8e, v161
	v_sub_f32_e32 v42, v36, v24
	v_add_f32_e32 v164, v29, v33
	v_add_f32_e32 v3, v6, v3
	v_fmamk_f32 v6, v51, 0x3f3d2fb0, v63
	v_add_f32_e32 v54, v16, v44
	v_mul_f32_e32 v72, 0xbf4c4adb, v159
	v_sub_f32_e32 v152, v41, v21
	v_fmamk_f32 v7, v42, 0x3f763a35, v83
	v_mul_f32_e32 v89, 0x3dbcf732, v164
	v_sub_f32_e32 v47, v32, v28
	v_add_f32_e32 v3, v6, v3
	v_fmamk_f32 v6, v54, 0xbf1a4643, v72
	v_add_f32_e32 v55, v20, v40
	v_mul_f32_e32 v73, 0x3f65296c, v152
	v_mul_f32_e32 v105, 0xbf59a7d5, v27
	v_add_f32_e32 v2, v7, v2
	v_fmamk_f32 v7, v47, 0xbf7ee86f, v89
	v_add_f32_e32 v6, v6, v3
	v_fmamk_f32 v10, v55, 0x3ee437d1, v73
	v_fmamk_f32 v11, v39, 0x3f06c442, v105
	v_mul_f32_e32 v91, 0x3ee437d1, v178
	v_add_f32_e32 v3, v7, v2
	v_sub_f32_e32 v162, v37, v25
	v_add_f32_e32 v2, v10, v6
	v_add_f32_e32 v6, v1, v11
	v_fmamk_f32 v7, v31, 0xbf65296c, v91
	v_mul_f32_e32 v92, 0x3dbcf732, v173
	v_add_f32_e32 v62, v24, v36
	v_mul_f32_e32 v88, 0xbf763a35, v162
	v_sub_f32_e32 v163, v33, v29
	v_add_f32_e32 v6, v7, v6
	v_fmamk_f32 v7, v34, 0x3f7ee86f, v92
	v_mul_f32_e32 v96, 0xbf1a4643, v170
	v_fmamk_f32 v10, v62, 0xbe8c1d8e, v88
	v_add_f32_e32 v59, v28, v32
	v_mul_f32_e32 v90, 0x3f7ee86f, v163
	v_add_f32_e32 v6, v7, v6
	v_fmamk_f32 v7, v30, 0xbf4c4adb, v96
	v_mul_f32_e32 v97, 0x3f6eb680, v171
	v_add_f32_e32 v2, v10, v2
	v_fmamk_f32 v10, v59, 0x3dbcf732, v90
	v_mul_f32_e32 v109, 0xbf06c442, v137
	v_add_f32_e32 v6, v7, v6
	v_fmamk_f32 v7, v35, 0x3eb8f4ab, v97
	v_mul_f32_e32 v103, 0xbf7ba420, v26
	v_add_f32_e32 v2, v10, v2
	v_fmamk_f32 v10, v43, 0xbf59a7d5, v109
	v_mul_f32_e32 v110, 0x3f65296c, v138
	v_add_f32_e32 v6, v7, v6
	v_fmamk_f32 v7, v38, 0x3e3c28d5, v103
	v_mul_f32_e32 v98, 0x3f3d2fb0, v161
	v_add_f32_e32 v10, v0, v10
	v_fmamk_f32 v11, v46, 0x3ee437d1, v110
	v_mul_f32_e32 v111, 0xbf7ee86f, v151
	v_add_f32_e32 v6, v7, v6
	v_fmamk_f32 v7, v42, 0xbf2c7751, v98
	v_mul_f32_e32 v99, 0xbe8c1d8e, v164
	v_add_f32_e32 v10, v11, v10
	v_fmamk_f32 v11, v50, 0x3dbcf732, v111
	v_mul_f32_e32 v114, 0x3f4c4adb, v156
	v_add_f32_e32 v6, v7, v6
	v_fmamk_f32 v7, v47, 0x3f763a35, v99
	v_mul_f32_e32 v107, 0xbf1a4643, v27
	v_add_f32_e32 v10, v11, v10
	v_fmamk_f32 v11, v51, 0xbf1a4643, v114
	v_mul_f32_e32 v130, 0xbeb8f4ab, v159
	v_add_f32_e32 v7, v7, v6
	v_fmamk_f32 v6, v39, 0x3f4c4adb, v107
	v_mul_f32_e32 v104, 0xbe8c1d8e, v178
	v_add_f32_e32 v10, v11, v10
	v_fmamk_f32 v11, v54, 0x3f6eb680, v130
	v_mul_f32_e32 v131, 0xbe3c28d5, v152
	v_add_f32_e32 v6, v1, v6
	v_fmamk_f32 v14, v31, 0xbf763a35, v104
	v_mul_f32_e32 v93, 0x3f6eb680, v173
	v_add_f32_e32 v10, v11, v10
	v_fmamk_f32 v11, v55, 0xbf7ba420, v131
	v_mul_f32_e32 v119, 0x3f2c7751, v162
	v_add_f32_e32 v6, v14, v6
	v_fmamk_f32 v14, v34, 0x3eb8f4ab, v93
	v_mul_f32_e32 v94, 0xbf59a7d5, v170
	v_add_f32_e32 v10, v11, v10
	v_fmamk_f32 v11, v62, 0x3f3d2fb0, v119
	v_mul_f32_e32 v106, 0xbf763a35, v163
	v_add_f32_e32 v6, v14, v6
	v_fmamk_f32 v14, v30, 0x3f06c442, v94
	v_mul_f32_e32 v95, 0x3dbcf732, v171
	v_add_f32_e32 v10, v11, v10
	v_fmamk_f32 v11, v59, 0xbe8c1d8e, v106
	v_mul_f32_e32 v121, 0xbf4c4adb, v137
	v_add_f32_e32 v14, v14, v6
	v_fmamk_f32 v15, v35, 0xbf7ee86f, v95
	v_mul_f32_e32 v100, 0x3f3d2fb0, v26
	v_add_f32_e32 v6, v11, v10
	v_fmamk_f32 v10, v43, 0xbf1a4643, v121
	v_mul_f32_e32 v123, 0x3f763a35, v138
	v_add_f32_e32 v11, v15, v14
	v_fmamk_f32 v14, v38, 0x3f2c7751, v100
	v_mul_f32_e32 v101, 0xbf7ba420, v161
	v_add_f32_e32 v10, v0, v10
	v_fmamk_f32 v15, v46, 0xbe8c1d8e, v123
	v_mul_f32_e32 v112, 0xbeb8f4ab, v151
	v_add_f32_e32 v11, v14, v11
	v_fmamk_f32 v14, v42, 0x3e3c28d5, v101
	v_mul_f32_e32 v102, 0x3ee437d1, v164
	v_add_f32_e32 v10, v15, v10
	v_fmamk_f32 v15, v50, 0x3f6eb680, v112
	v_mul_f32_e32 v113, 0xbf06c442, v156
	v_add_f32_e32 v11, v14, v11
	v_fmamk_f32 v14, v47, 0xbf65296c, v102
	v_mul_f32_e32 v141, 0xbe8c1d8e, v27
	v_add_f32_e32 v10, v15, v10
	v_fmamk_f32 v15, v51, 0xbf59a7d5, v113
	v_mul_f32_e32 v124, 0x3f7ee86f, v159
	v_add_f32_e32 v11, v14, v11
	v_fmamk_f32 v14, v39, 0x3f763a35, v141
	v_mul_f32_e32 v142, 0xbf59a7d5, v178
	v_add_f32_e32 v10, v15, v10
	v_fmamk_f32 v15, v54, 0x3dbcf732, v124
	v_mul_f32_e32 v125, 0xbf2c7751, v152
	v_add_f32_e32 v14, v1, v14
	v_fmamk_f32 v18, v31, 0xbf06c442, v142
	v_mul_f32_e32 v143, 0x3f3d2fb0, v173
	v_add_f32_e32 v10, v15, v10
	v_fmamk_f32 v15, v55, 0x3f3d2fb0, v125
	v_mul_f32_e32 v126, 0xbe3c28d5, v162
	v_add_f32_e32 v14, v18, v14
	v_fmamk_f32 v18, v34, 0xbf2c7751, v143
	v_mul_f32_e32 v144, 0x3ee437d1, v170
	v_add_f32_e32 v10, v15, v10
	v_fmamk_f32 v15, v62, 0xbf7ba420, v126
	v_mul_f32_e32 v115, 0x3f65296c, v163
	v_add_f32_e32 v14, v18, v14
	v_fmamk_f32 v18, v30, 0x3f65296c, v144
	v_mul_f32_e32 v145, 0xbf7ba420, v171
	v_add_f32_e32 v10, v15, v10
	v_fmamk_f32 v15, v59, 0x3ee437d1, v115
	v_mul_f32_e32 v146, 0xbf763a35, v137
	v_add_f32_e32 v14, v18, v14
	v_fmamk_f32 v18, v35, 0x3e3c28d5, v145
	v_mul_f32_e32 v147, 0x3dbcf732, v26
	v_add_f32_e32 v10, v15, v10
	v_fmamk_f32 v15, v43, 0xbe8c1d8e, v146
	v_mul_f32_e32 v148, 0x3f06c442, v138
	v_add_f32_e32 v14, v18, v14
	v_fmamk_f32 v18, v38, 0xbf7ee86f, v147
	v_mul_f32_e32 v127, 0x3f6eb680, v161
	v_add_f32_e32 v15, v0, v15
	v_fmamk_f32 v19, v46, 0xbf59a7d5, v148
	v_mul_f32_e32 v129, 0x3f2c7751, v151
	v_add_f32_e32 v14, v18, v14
	v_fmamk_f32 v18, v42, 0x3eb8f4ab, v127
	v_mul_f32_e32 v128, 0xbf1a4643, v164
	v_add_f32_e32 v15, v19, v15
	v_fmamk_f32 v19, v50, 0x3f3d2fb0, v129
	v_mul_f32_e32 v108, 0xbf65296c, v156
	v_add_f32_e32 v14, v18, v14
	v_fmamk_f32 v18, v47, 0x3f4c4adb, v128
	v_mul_f32_e32 v160, 0x3dbcf732, v27
	v_add_f32_e32 v19, v19, v15
	v_fmamk_f32 v22, v51, 0x3ee437d1, v108
	v_mul_f32_e32 v117, 0xbe3c28d5, v159
	v_add_f32_e32 v15, v18, v14
	v_fmamk_f32 v14, v39, 0x3f7ee86f, v160
	v_mul_f32_e32 v132, 0xbf7ba420, v178
	v_add_f32_e32 v18, v22, v19
	v_fmamk_f32 v19, v54, 0xbf7ba420, v117
	v_mul_f32_e32 v118, 0x3f7ee86f, v152
	v_add_f32_e32 v14, v1, v14
	v_fmamk_f32 v22, v31, 0x3e3c28d5, v132
	v_mul_f32_e32 v133, 0xbe8c1d8e, v173
	v_add_f32_e32 v18, v19, v18
	v_fmamk_f32 v19, v55, 0x3dbcf732, v118
	v_mul_f32_e32 v120, 0xbeb8f4ab, v162
	v_add_f32_e32 v14, v22, v14
	v_fmamk_f32 v22, v34, 0xbf763a35, v133
	v_mul_f32_e32 v139, 0x3f6eb680, v170
	v_add_f32_e32 v18, v19, v18
	v_fmamk_f32 v19, v62, 0x3f6eb680, v120
	v_mul_f32_e32 v122, 0xbf4c4adb, v163
	v_add_f32_e32 v14, v22, v14
	v_fmamk_f32 v22, v30, 0xbeb8f4ab, v139
	v_mul_f32_e32 v140, 0x3ee437d1, v171
	v_add_f32_e32 v18, v19, v18
	v_fmamk_f32 v19, v59, 0xbf1a4643, v122
	v_mul_f32_e32 v169, 0xbf7ee86f, v137
	v_add_f32_e32 v22, v22, v14
	v_fmamk_f32 v23, v35, 0x3f65296c, v140
	v_mul_f32_e32 v157, 0xbf59a7d5, v26
	v_add_f32_e32 v14, v19, v18
	v_fmamk_f32 v18, v43, 0x3dbcf732, v169
	v_mul_f32_e32 v172, 0xbe3c28d5, v138
	v_add_f32_e32 v19, v23, v22
	v_fmamk_f32 v22, v38, 0x3f06c442, v157
	v_mul_f32_e32 v149, 0xbf1a4643, v161
	v_add_f32_e32 v18, v0, v18
	v_fmamk_f32 v23, v46, 0xbf7ba420, v172
	v_mul_f32_e32 v174, 0x3f763a35, v151
	v_add_f32_e32 v19, v22, v19
	v_fmamk_f32 v22, v42, 0xbf4c4adb, v149
	v_mul_f32_e32 v150, 0x3f3d2fb0, v164
	v_add_f32_e32 v18, v23, v18
	v_fmamk_f32 v23, v50, 0xbe8c1d8e, v174
	v_mul_f32_e32 v177, 0x3eb8f4ab, v156
	v_add_f32_e32 v19, v22, v19
	v_fmamk_f32 v22, v47, 0xbf2c7751, v150
	v_mul_f32_e32 v168, 0x3ee437d1, v27
	v_add_f32_e32 v18, v23, v18
	v_fmamk_f32 v23, v51, 0x3f6eb680, v177
	v_mul_f32_e32 v188, 0xbf65296c, v159
	v_add_f32_e32 v19, v22, v19
	v_fmamk_f32 v22, v39, 0x3f65296c, v168
	v_mul_f32_e32 v158, 0xbf1a4643, v178
	v_add_f32_e32 v18, v23, v18
	v_fmamk_f32 v23, v54, 0x3ee437d1, v188
	v_mul_f32_e32 v190, 0xbf06c442, v152
	v_add_f32_e32 v22, v1, v22
	v_fmamk_f32 v116, v31, 0x3f4c4adb, v158
	v_mul_f32_e32 v134, 0xbf7ba420, v173
	v_add_f32_e32 v18, v23, v18
	v_fmamk_f32 v23, v55, 0xbf59a7d5, v190
	v_mul_f32_e32 v181, 0x3f4c4adb, v162
	v_add_f32_e32 v22, v116, v22
	v_fmamk_f32 v116, v34, 0xbe3c28d5, v134
	v_mul_f32_e32 v135, 0xbe8c1d8e, v170
	v_add_f32_e32 v18, v23, v18
	v_fmamk_f32 v23, v62, 0xbf1a4643, v181
	v_mul_f32_e32 v165, 0x3f2c7751, v163
	v_add_f32_e32 v22, v116, v22
	v_fmamk_f32 v116, v30, 0xbf763a35, v135
	v_mul_f32_e32 v136, 0x3f3d2fb0, v171
	v_add_f32_e32 v18, v23, v18
	v_fmamk_f32 v23, v59, 0x3f3d2fb0, v165
	v_mul_f32_e32 v182, 0xbf65296c, v137
	v_add_f32_e32 v22, v116, v22
	v_fmamk_f32 v116, v35, 0xbf2c7751, v136
	v_mul_f32_e32 v153, 0x3f6eb680, v26
	v_add_f32_e32 v18, v23, v18
	v_fmamk_f32 v23, v43, 0x3ee437d1, v182
	v_mul_f32_e32 v183, 0xbf4c4adb, v138
	v_add_f32_e32 v22, v116, v22
	v_fmamk_f32 v116, v38, 0x3eb8f4ab, v153
	v_mul_f32_e32 v154, 0x3dbcf732, v161
	v_add_f32_e32 v23, v0, v23
	v_fmamk_f32 v166, v46, 0xbf1a4643, v183
	v_mul_f32_e32 v175, 0x3e3c28d5, v151
	v_add_f32_e32 v22, v116, v22
	v_fmamk_f32 v116, v42, 0x3f7ee86f, v154
	v_mul_f32_e32 v155, 0xbf59a7d5, v164
	v_add_f32_e32 v23, v166, v23
	v_fmamk_f32 v166, v50, 0xbf7ba420, v175
	v_mul_f32_e32 v176, 0x3f763a35, v156
	v_add_f32_e32 v22, v116, v22
	v_fmamk_f32 v116, v47, 0x3f06c442, v155
	v_mul_f32_e32 v194, 0x3f3d2fb0, v27
	v_add_f32_e32 v166, v166, v23
	v_fmamk_f32 v167, v51, 0xbe8c1d8e, v176
	v_mul_f32_e32 v184, 0x3f2c7751, v159
	v_add_f32_e32 v23, v116, v22
	v_fmamk_f32 v22, v39, 0x3f2c7751, v194
	v_mul_f32_e32 v195, 0x3dbcf732, v178
	v_add_f32_e32 v116, v167, v166
	v_fmamk_f32 v166, v54, 0x3f3d2fb0, v184
	v_mul_f32_e32 v185, 0xbeb8f4ab, v152
	v_add_f32_e32 v22, v1, v22
	v_fmamk_f32 v167, v31, 0x3f7ee86f, v195
	v_mul_f32_e32 v196, 0xbf1a4643, v173
	v_add_f32_e32 v116, v166, v116
	v_fmamk_f32 v166, v55, 0x3f6eb680, v185
	v_mul_f32_e32 v186, 0xbf7ee86f, v162
	v_add_f32_e32 v22, v167, v22
	v_fmamk_f32 v167, v34, 0x3f4c4adb, v196
	v_mul_f32_e32 v197, 0xbf7ba420, v170
	v_add_f32_e32 v116, v166, v116
	v_fmamk_f32 v166, v62, 0x3dbcf732, v186
	v_mul_f32_e32 v179, 0xbf06c442, v163
	v_add_f32_e32 v22, v167, v22
	v_fmamk_f32 v167, v30, 0x3e3c28d5, v197
	v_mul_f32_e32 v198, 0xbf59a7d5, v171
	v_add_f32_e32 v116, v166, v116
	v_fmamk_f32 v166, v59, 0xbf59a7d5, v179
	v_mul_f32_e32 v199, 0xbf2c7751, v137
	v_add_f32_e32 v167, v167, v22
	v_fmamk_f32 v180, v35, 0xbf06c442, v198
	v_mul_f32_e32 v200, 0xbe8c1d8e, v26
	v_add_f32_e32 v22, v166, v116
	v_fmamk_f32 v116, v43, 0x3f3d2fb0, v199
	v_mul_f32_e32 v201, 0xbf7ee86f, v138
	v_add_f32_e32 v167, v180, v167
	v_fmamk_f32 v180, v38, 0xbf763a35, v200
	v_mul_f32_e32 v187, 0x3ee437d1, v161
	v_add_f32_e32 v189, v0, v116
	v_fmamk_f32 v191, v46, 0x3dbcf732, v201
	v_mul_f32_e32 v166, 0xbf4c4adb, v151
	v_add_f32_e32 v180, v180, v167
	v_fmamk_f32 v192, v42, 0xbf65296c, v187
	v_mul_f32_e32 v116, 0x3f6eb680, v164
	v_add_f32_e32 v61, v1, v61
	v_add_f32_e32 v191, v191, v189
	v_fmamk_f32 v193, v50, 0xbf1a4643, v166
	v_mul_f32_e32 v167, 0xbe3c28d5, v156
	v_add_f32_e32 v192, v192, v180
	v_fmamk_f32 v202, v47, 0xbeb8f4ab, v116
	v_mul_f32_e32 v189, 0x3f6eb680, v27
	v_add_f32_e32 v61, v61, v57
	v_add_f32_e32 v60, v0, v60
	v_add_f32_e32 v193, v193, v191
	v_fmamk_f32 v203, v51, 0xbf7ba420, v167
	v_mul_f32_e32 v180, 0x3f06c442, v159
	v_add_f32_e32 v27, v202, v192
	v_fmamk_f32 v192, v39, 0x3eb8f4ab, v189
	v_mul_f32_e32 v191, 0x3f3d2fb0, v178
	v_add_f32_e32 v61, v61, v53
	;; [unrolled: 8-line block ×5, first 2 shown]
	v_add_f32_e32 v44, v48, v44
	v_add_f32_e32 v202, v205, v202
	v_fmamk_f32 v205, v59, 0x3f6eb680, v170
	v_add_f32_e32 v203, v204, v203
	v_fmamk_f32 v204, v35, 0x3f763a35, v171
	v_mul_f32_e32 v57, 0xbf1a4643, v26
	v_add_f32_e32 v37, v45, v37
	v_add_f32_e32 v40, v44, v40
	;; [unrolled: 1-line block ×4, first 2 shown]
	v_fmamk_f32 v60, v38, 0x3f4c4adb, v57
	v_mul_f32_e32 v53, 0xbf59a7d5, v161
	v_mul_f32_e32 v137, 0xbeb8f4ab, v137
	v_add_f32_e32 v33, v37, v33
	v_add_f32_e32 v36, v40, v36
	;; [unrolled: 1-line block ×3, first 2 shown]
	v_fmamk_f32 v60, v42, 0x3f06c442, v53
	v_fmamk_f32 v61, v43, 0x3f6eb680, v137
	v_mul_f32_e32 v49, 0xbf2c7751, v138
	v_add_f32_e32 v33, v33, v29
	v_add_f32_e32 v32, v36, v32
	;; [unrolled: 1-line block ×4, first 2 shown]
	v_fmamk_f32 v48, v46, 0x3f3d2fb0, v49
	v_mul_f32_e32 v60, 0xbf65296c, v151
	v_add_f32_e32 v25, v33, v25
	v_add_f32_e32 v28, v32, v28
	v_fmac_f32_e32 v78, 0xbe3c28d5, v39
	v_mul_f32_e32 v41, 0xbf7ba420, v164
	v_add_f32_e32 v44, v48, v56
	v_fmamk_f32 v45, v50, 0x3ee437d1, v60
	v_mul_f32_e32 v48, 0xbf7ee86f, v156
	v_add_f32_e32 v21, v25, v21
	v_add_f32_e32 v24, v28, v24
	;; [unrolled: 1-line block ×3, first 2 shown]
	v_fmac_f32_e32 v80, 0x3eb8f4ab, v31
	v_fmamk_f32 v37, v47, 0x3e3c28d5, v41
	v_add_f32_e32 v40, v45, v44
	v_fmamk_f32 v44, v51, 0x3dbcf732, v48
	v_mul_f32_e32 v36, 0xbf763a35, v159
	v_add_f32_e32 v17, v21, v17
	v_add_f32_e32 v20, v24, v20
	;; [unrolled: 1-line block ×3, first 2 shown]
	v_fmac_f32_e32 v81, 0xbf06c442, v34
	v_add_f32_e32 v29, v37, v52
	v_add_f32_e32 v37, v44, v40
	v_fmamk_f32 v32, v54, 0xbe8c1d8e, v36
	v_mul_f32_e32 v40, 0xbf4c4adb, v152
	v_add_f32_e32 v13, v17, v13
	v_add_f32_e32 v16, v20, v16
	v_add_f32_e32 v17, v81, v21
	v_fmac_f32_e32 v82, 0x3f2c7751, v30
	v_add_f32_e32 v28, v32, v37
	v_fmamk_f32 v32, v55, 0xbf1a4643, v40
	v_mul_f32_e32 v37, 0xbf06c442, v162
	v_add_f32_e32 v9, v13, v9
	v_add_f32_e32 v12, v16, v12
	v_add_f32_e32 v13, v82, v17
	v_fmac_f32_e32 v87, 0xbf4c4adb, v35
	;; [unrolled: 7-line block ×3, first 2 shown]
	v_fma_f32 v12, 0xbf7ba420, v43, -v86
	v_add_f32_e32 v16, v20, v24
	v_fmamk_f32 v17, v59, 0xbf7ba420, v44
	v_add_f32_e32 v4, v8, v4
	v_add_f32_e32 v8, v84, v9
	v_fmac_f32_e32 v83, 0xbf763a35, v42
	v_add_f32_e32 v9, v0, v12
	v_fma_f32 v12, 0x3f6eb680, v46, -v85
	v_fmac_f32_e32 v105, 0xbf06c442, v39
	v_add_f32_e32 v28, v17, v16
	v_add_f32_e32 v8, v83, v8
	v_fmac_f32_e32 v89, 0x3f7ee86f, v47
	v_add_f32_e32 v12, v12, v9
	v_fma_f32 v13, 0xbf59a7d5, v50, -v79
	v_add_f32_e32 v16, v1, v105
	v_fmac_f32_e32 v91, 0x3f65296c, v31
	v_add_f32_e32 v9, v89, v8
	v_fma_f32 v8, 0xbf59a7d5, v43, -v109
	v_add_f32_e32 v12, v13, v12
	v_fma_f32 v13, 0x3f3d2fb0, v51, -v63
	v_add_f32_e32 v16, v91, v16
	v_fmac_f32_e32 v92, 0xbf7ee86f, v34
	v_add_f32_e32 v8, v0, v8
	v_fma_f32 v17, 0x3ee437d1, v46, -v110
	;; [unrolled: 6-line block ×6, first 2 shown]
	v_add_f32_e32 v8, v13, v12
	v_fmac_f32_e32 v107, 0xbf4c4adb, v39
	v_add_f32_e32 v12, v98, v16
	v_fmac_f32_e32 v99, 0xbf763a35, v47
	v_add_f32_e32 v16, v20, v17
	v_fma_f32 v17, 0x3f3d2fb0, v62, -v119
	v_add_f32_e32 v20, v1, v107
	v_fmac_f32_e32 v104, 0x3f763a35, v31
	v_add_f32_e32 v13, v99, v12
	v_fma_f32 v12, 0xbf1a4643, v43, -v121
	v_add_f32_e32 v16, v17, v16
	v_fma_f32 v17, 0xbe8c1d8e, v59, -v106
	v_add_f32_e32 v20, v104, v20
	v_fmac_f32_e32 v93, 0xbeb8f4ab, v34
	v_add_f32_e32 v21, v0, v12
	v_fma_f32 v24, 0xbe8c1d8e, v46, -v123
	v_fmac_f32_e32 v141, 0xbf763a35, v39
	v_add_f32_e32 v12, v17, v16
	v_add_f32_e32 v16, v93, v20
	v_fmac_f32_e32 v94, 0xbf06c442, v30
	v_add_f32_e32 v17, v24, v21
	v_fma_f32 v20, 0x3f6eb680, v50, -v112
	v_add_f32_e32 v21, v1, v141
	v_fmac_f32_e32 v142, 0x3f06c442, v31
	v_add_f32_e32 v16, v94, v16
	v_fmac_f32_e32 v95, 0x3f7ee86f, v35
	v_add_f32_e32 v17, v20, v17
	v_fma_f32 v20, 0xbf59a7d5, v51, -v113
	v_add_f32_e32 v21, v142, v21
	v_fmac_f32_e32 v143, 0x3f2c7751, v34
	;; [unrolled: 6-line block ×5, first 2 shown]
	v_add_f32_e32 v17, v102, v16
	v_fma_f32 v16, 0xbe8c1d8e, v43, -v146
	v_add_f32_e32 v20, v24, v20
	v_fma_f32 v24, 0x3ee437d1, v59, -v115
	v_add_f32_e32 v21, v147, v21
	v_fmac_f32_e32 v127, 0xbeb8f4ab, v42
	v_add_f32_e32 v25, v0, v16
	v_fma_f32 v32, 0xbf59a7d5, v46, -v148
	v_add_f32_e32 v16, v24, v20
	v_fmac_f32_e32 v160, 0xbf7ee86f, v39
	v_add_f32_e32 v20, v127, v21
	v_fmac_f32_e32 v128, 0xbf4c4adb, v47
	v_add_f32_e32 v24, v32, v25
	v_fma_f32 v25, 0x3f3d2fb0, v50, -v129
	v_add_f32_e32 v32, v1, v160
	v_fmac_f32_e32 v132, 0xbe3c28d5, v31
	v_add_f32_e32 v21, v128, v20
	v_fma_f32 v20, 0x3dbcf732, v43, -v169
	v_add_f32_e32 v24, v25, v24
	v_fma_f32 v25, 0x3ee437d1, v51, -v108
	v_add_f32_e32 v32, v132, v32
	v_fmac_f32_e32 v133, 0x3f763a35, v34
	v_add_f32_e32 v20, v0, v20
	v_fma_f32 v33, 0xbf7ba420, v46, -v172
	;; [unrolled: 6-line block ×6, first 2 shown]
	v_fmac_f32_e32 v168, 0xbf65296c, v39
	v_add_f32_e32 v20, v25, v24
	v_add_f32_e32 v24, v149, v32
	v_fmac_f32_e32 v150, 0x3f2c7751, v47
	v_add_f32_e32 v32, v45, v33
	v_fma_f32 v33, 0xbf1a4643, v62, -v181
	v_add_f32_e32 v45, v1, v168
	v_fmac_f32_e32 v158, 0xbf4c4adb, v31
	v_add_f32_e32 v25, v150, v24
	v_fma_f32 v24, 0x3ee437d1, v43, -v182
	v_add_f32_e32 v32, v33, v32
	v_fma_f32 v33, 0x3f3d2fb0, v59, -v165
	v_add_f32_e32 v45, v158, v45
	v_fmac_f32_e32 v134, 0x3e3c28d5, v34
	v_add_f32_e32 v52, v0, v24
	v_fma_f32 v56, 0xbf1a4643, v46, -v183
	v_add_f32_e32 v24, v33, v32
	v_fmac_f32_e32 v194, 0xbf2c7751, v39
	v_add_f32_e32 v32, v134, v45
	v_fmac_f32_e32 v135, 0x3f763a35, v30
	v_add_f32_e32 v33, v56, v52
	v_fma_f32 v45, 0xbf7ba420, v50, -v175
	v_add_f32_e32 v52, v1, v194
	v_fmac_f32_e32 v195, 0xbf7ee86f, v31
	;; [unrolled: 6-line block ×6, first 2 shown]
	v_add_f32_e32 v33, v155, v32
	v_fma_f32 v32, 0x3f3d2fb0, v43, -v199
	v_fmac_f32_e32 v189, 0xbeb8f4ab, v39
	v_fma_f32 v43, 0x3f6eb680, v43, -v137
	v_add_f32_e32 v45, v56, v45
	v_fma_f32 v56, 0xbf59a7d5, v59, -v179
	v_add_f32_e32 v52, v200, v52
	v_fmac_f32_e32 v187, 0x3f65296c, v42
	v_add_f32_e32 v61, v0, v32
	v_fma_f32 v63, 0x3dbcf732, v46, -v201
	v_add_f32_e32 v1, v1, v189
	v_fmac_f32_e32 v191, 0xbf2c7751, v31
	v_add_f32_e32 v0, v0, v43
	v_fma_f32 v31, 0x3f3d2fb0, v46, -v49
	v_add_f32_e32 v32, v56, v45
	v_add_f32_e32 v39, v187, v52
	;; [unrolled: 1-line block ×3, first 2 shown]
	v_fma_f32 v52, 0xbf1a4643, v50, -v166
	v_add_f32_e32 v1, v191, v1
	v_fmac_f32_e32 v192, 0xbf65296c, v34
	v_add_f32_e32 v0, v31, v0
	v_fma_f32 v31, 0x3ee437d1, v50, -v60
	v_add_f32_e32 v43, v52, v45
	v_fma_f32 v45, 0xbf7ba420, v51, -v167
	v_add_f32_e32 v1, v192, v1
	v_fmac_f32_e32 v193, 0xbf7ee86f, v30
	v_add_f32_e32 v0, v31, v0
	v_fma_f32 v30, 0x3dbcf732, v51, -v48
	v_add_f32_e32 v34, v45, v43
	v_fma_f32 v43, 0xbf59a7d5, v54, -v180
	v_add_f32_e32 v1, v193, v1
	v_fmac_f32_e32 v171, 0xbf763a35, v35
	v_add_f32_e32 v0, v30, v0
	v_fma_f32 v30, 0xbe8c1d8e, v54, -v36
	v_add_nc_u32_e32 v58, 17, v66
	v_add_f32_e32 v31, v43, v34
	v_fma_f32 v34, 0xbe8c1d8e, v55, -v178
	v_add_f32_e32 v1, v171, v1
	v_fmac_f32_e32 v57, 0xbf4c4adb, v38
	v_add_f32_e32 v0, v30, v0
	v_fma_f32 v30, 0xbf1a4643, v55, -v40
	v_add_f32_e32 v31, v34, v31
	v_fma_f32 v34, 0x3ee437d1, v62, -v173
	v_add_f32_e32 v1, v57, v1
	v_fmac_f32_e32 v53, 0xbf06c442, v42
	v_add_f32_e32 v0, v30, v0
	v_fma_f32 v30, 0xbf59a7d5, v62, -v37
	v_mul_u32_u24_e32 v35, 0x88, v58
	v_add_f32_e32 v5, v5, v71
	v_add_f32_e32 v4, v4, v70
	v_fmac_f32_e32 v116, 0x3eb8f4ab, v47
	v_add_f32_e32 v31, v34, v31
	v_fma_f32 v34, 0x3f6eb680, v59, -v170
	v_add_f32_e32 v36, v53, v1
	v_fmac_f32_e32 v41, 0xbe3c28d5, v47
	v_add_f32_e32 v30, v30, v0
	v_fma_f32 v37, 0xbf7ba420, v59, -v44
	v_add3_u32 v35, 0, v35, v76
	v_add_f32_e32 v1, v116, v39
	v_add_f32_e32 v0, v34, v31
	;; [unrolled: 1-line block ×4, first 2 shown]
	ds_write2_b64 v35, v[4:5], v[28:29] offset1:1
	ds_write2_b64 v35, v[26:27], v[22:23] offset0:2 offset1:3
	ds_write2_b64 v35, v[18:19], v[14:15] offset0:4 offset1:5
	;; [unrolled: 1-line block ×7, first 2 shown]
	ds_write_b64 v35, v[30:31] offset:128
.LBB0_20:
	s_or_b32 exec_lo, exec_lo, s1
	v_lshlrev_b32_e32 v0, 1, v66
	v_mov_b32_e32 v1, 0
	v_add_nc_u16 v7, v66, 0x44
	v_add_nc_u16 v6, v66, 51
	;; [unrolled: 1-line block ×4, first 2 shown]
	v_lshlrev_b64 v[2:3], 3, v[0:1]
	v_add_nc_u16 v0, v66, 34
	v_and_b32_e32 v11, 0xff, v7
	v_add_nc_u16 v18, v66, 0x77
	v_and_b32_e32 v9, 0xff, v6
	v_and_b32_e32 v12, 0xff, v10
	;; [unrolled: 1-line block ×4, first 2 shown]
	v_mul_lo_u16 v11, 0xf1, v11
	v_and_b32_e32 v15, 0xff, v18
	v_mul_lo_u16 v9, 0xf1, v9
	v_mul_lo_u16 v8, 0xf1, v8
	v_add_co_u32 v2, s0, s12, v2
	v_add_co_ci_u32_e64 v3, s0, s13, v3, s0
	v_lshrrev_b16 v8, 12, v8
	v_mul_lo_u16 v12, 0xf1, v12
	v_mul_lo_u16 v13, 0xf1, v13
	v_lshrrev_b16 v11, 12, v11
	v_mul_lo_u16 v15, 0xf1, v15
	v_mul_lo_u16 v8, v8, 17
	v_lshrrev_b16 v9, 12, v9
	s_waitcnt lgkmcnt(0)
	s_barrier
	buffer_gl0_inv
	global_load_dwordx4 v[2:5], v[2:3], off
	v_sub_nc_u16 v88, v0, v8
	v_lshrrev_b16 v0, 12, v12
	v_lshrrev_b16 v12, 12, v13
	v_mul_lo_u16 v8, v11, 17
	v_lshrrev_b16 v15, 12, v15
	v_mul_lo_u16 v9, v9, 17
	v_mov_b32_e32 v22, 4
	v_mul_lo_u16 v0, v0, 17
	v_sub_nc_u16 v90, v7, v8
	v_mul_lo_u16 v16, v12, 17
	v_mul_lo_u16 v19, v15, 17
	v_sub_nc_u16 v89, v6, v9
	v_lshlrev_b32_sdwa v6, v22, v88 dst_sel:DWORD dst_unused:UNUSED_PAD src0_sel:DWORD src1_sel:BYTE_0
	v_sub_nc_u16 v91, v10, v0
	v_lshlrev_b32_sdwa v0, v22, v90 dst_sel:DWORD dst_unused:UNUSED_PAD src0_sel:DWORD src1_sel:BYTE_0
	v_sub_nc_u16 v92, v14, v16
	v_sub_nc_u16 v93, v18, v19
	v_lshlrev_b32_sdwa v11, v22, v89 dst_sel:DWORD dst_unused:UNUSED_PAD src0_sel:DWORD src1_sel:BYTE_0
	s_clause 0x1
	global_load_dwordx4 v[6:9], v6, s[12:13]
	global_load_dwordx4 v[14:17], v0, s[12:13]
	v_lshlrev_b32_sdwa v20, v22, v91 dst_sel:DWORD dst_unused:UNUSED_PAD src0_sel:DWORD src1_sel:BYTE_0
	v_lshlrev_b32_sdwa v0, v22, v92 dst_sel:DWORD dst_unused:UNUSED_PAD src0_sel:DWORD src1_sel:BYTE_0
	;; [unrolled: 1-line block ×3, first 2 shown]
	global_load_dwordx4 v[10:13], v11, s[12:13]
	v_mov_b32_e32 v95, 3
	s_clause 0x2
	global_load_dwordx4 v[18:21], v20, s[12:13]
	global_load_dwordx4 v[22:25], v0, s[12:13]
	;; [unrolled: 1-line block ×3, first 2 shown]
	v_add_nc_u32_e32 v0, 0x400, v67
	ds_read2_b64 v[30:33], v67 offset0:119 offset1:136
	ds_read2_b64 v[34:37], v67 offset0:17 offset1:34
	;; [unrolled: 1-line block ×10, first 2 shown]
	ds_read_b64 v[62:63], v75
	ds_read_b64 v[86:87], v67 offset:3128
	ds_read2_b64 v[82:85], v0 offset0:127 offset1:144
	s_waitcnt vmcnt(0) lgkmcnt(0)
	s_barrier
	buffer_gl0_inv
	v_mul_u32_u24_e32 v94, 7, v66
	v_lshlrev_b32_sdwa v88, v95, v88 dst_sel:DWORD dst_unused:UNUSED_PAD src0_sel:DWORD src1_sel:BYTE_0
	v_lshlrev_b32_sdwa v91, v95, v91 dst_sel:DWORD dst_unused:UNUSED_PAD src0_sel:DWORD src1_sel:BYTE_0
	;; [unrolled: 1-line block ×6, first 2 shown]
	v_lshlrev_b32_e32 v94, 3, v94
	v_add3_u32 v88, 0, v88, v76
	v_add3_u32 v91, 0, v91, v76
	v_add3_u32 v92, 0, v92, v76
	v_add3_u32 v93, 0, v93, v76
	v_add3_u32 v89, 0, v89, v76
	v_add3_u32 v76, 0, v90, v76
	v_add_nc_u32_e32 v90, 0x400, v91
	v_add_nc_u32_e32 v95, 0x800, v92
	;; [unrolled: 1-line block ×3, first 2 shown]
	v_mul_f32_e32 v97, v33, v3
	v_mul_f32_e32 v98, v32, v3
	;; [unrolled: 1-line block ×8, first 2 shown]
	v_fmac_f32_e32 v97, v32, v2
	v_fma_f32 v32, v33, v2, -v98
	v_fmac_f32_e32 v99, v84, v4
	v_fma_f32 v33, v85, v4, -v100
	v_fmac_f32_e32 v101, v38, v2
	v_fmac_f32_e32 v102, v42, v4
	v_fma_f32 v2, v39, v2, -v3
	v_fma_f32 v5, v43, v4, -v5
	v_add_f32_e32 v4, v97, v99
	v_sub_f32_e32 v38, v32, v33
	v_add_f32_e32 v39, v63, v32
	v_add_f32_e32 v32, v32, v33
	;; [unrolled: 1-line block ×5, first 2 shown]
	v_sub_f32_e32 v42, v97, v99
	v_add_f32_e32 v97, v35, v2
	v_add_f32_e32 v98, v2, v5
	v_fma_f32 v62, -0.5, v4, v62
	v_fmac_f32_e32 v63, -0.5, v32
	v_add_f32_e32 v4, v43, v102
	v_fma_f32 v32, -0.5, v84, v34
	v_mul_f32_e32 v43, v41, v7
	v_mul_f32_e32 v7, v40, v7
	;; [unrolled: 1-line block ×4, first 2 shown]
	v_sub_f32_e32 v85, v2, v5
	v_sub_f32_e32 v100, v101, v102
	v_add_f32_e32 v2, v3, v99
	v_add_f32_e32 v3, v39, v33
	;; [unrolled: 1-line block ×3, first 2 shown]
	v_fma_f32 v33, -0.5, v98, v35
	v_mul_f32_e32 v97, v51, v11
	v_mul_f32_e32 v11, v50, v11
	v_mul_f32_e32 v98, v55, v13
	v_mul_f32_e32 v13, v54, v13
	v_mul_f32_e32 v99, v53, v15
	v_mul_f32_e32 v15, v52, v15
	v_mul_f32_e32 v101, v57, v17
	v_mul_f32_e32 v17, v56, v17
	v_mul_f32_e32 v104, v73, v23
	v_mul_f32_e32 v105, v81, v25
	v_mul_f32_e32 v102, v71, v19
	v_mul_f32_e32 v19, v70, v19
	v_mul_f32_e32 v103, v79, v21
	v_mul_f32_e32 v21, v78, v21
	v_mul_f32_e32 v23, v72, v23
	v_mul_f32_e32 v25, v80, v25
	v_mul_f32_e32 v106, v83, v27
	v_mul_f32_e32 v27, v82, v27
	v_mul_f32_e32 v107, v87, v29
	v_mul_f32_e32 v29, v86, v29
	v_fmamk_f32 v34, v38, 0xbf5db3d7, v62
	v_fmamk_f32 v35, v42, 0x3f5db3d7, v63
	v_fmac_f32_e32 v43, v40, v6
	v_fma_f32 v6, v41, v6, -v7
	v_fmac_f32_e32 v84, v44, v8
	v_fma_f32 v7, v45, v8, -v9
	v_fmac_f32_e32 v62, 0x3f5db3d7, v38
	v_fmac_f32_e32 v63, 0xbf5db3d7, v42
	v_fmamk_f32 v38, v85, 0xbf5db3d7, v32
	v_fmac_f32_e32 v32, 0x3f5db3d7, v85
	v_fmamk_f32 v39, v100, 0x3f5db3d7, v33
	v_fmac_f32_e32 v33, 0xbf5db3d7, v100
	v_fmac_f32_e32 v97, v50, v10
	v_fma_f32 v8, v51, v10, -v11
	v_fmac_f32_e32 v98, v54, v12
	v_fma_f32 v9, v55, v12, -v13
	;; [unrolled: 2-line block ×4, first 2 shown]
	v_fmac_f32_e32 v104, v72, v22
	v_fmac_f32_e32 v105, v80, v24
	;; [unrolled: 1-line block ×3, first 2 shown]
	v_fma_f32 v12, v71, v18, -v19
	v_fmac_f32_e32 v103, v78, v20
	v_fma_f32 v13, v79, v20, -v21
	v_fma_f32 v14, v73, v22, -v23
	v_fma_f32 v15, v81, v24, -v25
	v_fmac_f32_e32 v106, v82, v26
	v_fma_f32 v16, v83, v26, -v27
	v_fmac_f32_e32 v107, v86, v28
	v_fma_f32 v17, v87, v28, -v29
	ds_write2_b64 v67, v[2:3], v[34:35] offset1:17
	ds_write2_b64 v67, v[62:63], v[4:5] offset0:34 offset1:51
	ds_write2_b64 v67, v[38:39], v[32:33] offset0:68 offset1:85
	v_add_f32_e32 v3, v43, v84
	v_add_f32_e32 v5, v6, v7
	v_sub_f32_e32 v19, v6, v7
	v_add_f32_e32 v4, v37, v6
	v_add_f32_e32 v6, v46, v97
	v_add_f32_e32 v18, v97, v98
	v_sub_f32_e32 v21, v8, v9
	v_add_f32_e32 v22, v47, v8
	v_add_f32_e32 v8, v8, v9
	v_add_f32_e32 v25, v99, v101
	v_sub_f32_e32 v26, v10, v11
	v_add_f32_e32 v27, v49, v10
	v_add_f32_e32 v10, v10, v11
	v_add_f32_e32 v40, v104, v105
	;; [unrolled: 1-line block ×3, first 2 shown]
	v_sub_f32_e32 v20, v43, v84
	v_add_f32_e32 v32, v102, v103
	v_add_f32_e32 v34, v59, v12
	;; [unrolled: 1-line block ×6, first 2 shown]
	v_fma_f32 v36, -0.5, v3, v36
	v_fmac_f32_e32 v37, -0.5, v5
	v_sub_f32_e32 v23, v97, v98
	v_add_f32_e32 v3, v4, v7
	v_add_f32_e32 v4, v6, v98
	v_fma_f32 v6, -0.5, v18, v46
	v_fma_f32 v7, -0.5, v8, v47
	v_add_f32_e32 v24, v48, v99
	v_sub_f32_e32 v28, v99, v101
	v_add_f32_e32 v39, v60, v104
	v_sub_f32_e32 v41, v14, v15
	v_fma_f32 v48, -0.5, v25, v48
	v_fmac_f32_e32 v49, -0.5, v10
	v_fma_f32 v60, -0.5, v40, v60
	v_add_f32_e32 v29, v58, v102
	v_sub_f32_e32 v33, v12, v13
	v_sub_f32_e32 v38, v102, v103
	v_add_f32_e32 v42, v61, v14
	v_sub_f32_e32 v44, v104, v105
	v_add_f32_e32 v45, v30, v106
	v_sub_f32_e32 v51, v16, v17
	v_add_f32_e32 v52, v31, v16
	v_sub_f32_e32 v54, v106, v107
	v_add_f32_e32 v2, v2, v84
	v_add_f32_e32 v5, v22, v9
	v_add_f32_e32 v9, v27, v11
	v_fma_f32 v12, -0.5, v32, v58
	v_add_f32_e32 v11, v34, v13
	v_fma_f32 v13, -0.5, v35, v59
	v_fmac_f32_e32 v61, -0.5, v43
	v_fma_f32 v30, -0.5, v50, v30
	v_fmac_f32_e32 v31, -0.5, v53
	v_fmamk_f32 v18, v19, 0xbf5db3d7, v36
	v_fmac_f32_e32 v36, 0x3f5db3d7, v19
	v_fmamk_f32 v19, v20, 0x3f5db3d7, v37
	v_fmac_f32_e32 v37, 0xbf5db3d7, v20
	v_fmamk_f32 v20, v21, 0xbf5db3d7, v6
	v_fmac_f32_e32 v6, 0x3f5db3d7, v21
	v_fmamk_f32 v21, v23, 0x3f5db3d7, v7
	v_fmac_f32_e32 v7, 0xbf5db3d7, v23
	v_add_f32_e32 v8, v24, v101
	v_fmamk_f32 v22, v26, 0xbf5db3d7, v48
	v_fmac_f32_e32 v48, 0x3f5db3d7, v26
	v_fmamk_f32 v23, v28, 0x3f5db3d7, v49
	v_fmamk_f32 v26, v41, 0xbf5db3d7, v60
	v_add_f32_e32 v10, v29, v103
	v_add_f32_e32 v14, v39, v105
	;; [unrolled: 1-line block ×5, first 2 shown]
	v_fmac_f32_e32 v49, 0xbf5db3d7, v28
	v_fmamk_f32 v24, v33, 0xbf5db3d7, v12
	v_fmac_f32_e32 v12, 0x3f5db3d7, v33
	v_fmamk_f32 v25, v38, 0x3f5db3d7, v13
	v_fmac_f32_e32 v13, 0xbf5db3d7, v38
	v_fmac_f32_e32 v60, 0x3f5db3d7, v41
	v_fmamk_f32 v27, v44, 0x3f5db3d7, v61
	v_fmac_f32_e32 v61, 0xbf5db3d7, v44
	v_fmamk_f32 v28, v51, 0xbf5db3d7, v30
	;; [unrolled: 2-line block ×3, first 2 shown]
	v_fmac_f32_e32 v31, 0xbf5db3d7, v54
	ds_write2_b64 v88, v[2:3], v[18:19] offset0:102 offset1:119
	ds_write_b64 v88, v[36:37] offset:1088
	ds_write2_b64 v89, v[4:5], v[20:21] offset0:153 offset1:170
	ds_write_b64 v89, v[6:7] offset:1496
	;; [unrolled: 2-line block ×6, first 2 shown]
	v_add_co_u32 v26, s0, s12, v94
	v_add_co_ci_u32_e64 v27, null, s13, 0, s0
	s_waitcnt lgkmcnt(0)
	v_add_co_u32 v38, s0, 0x3b8, v26
	v_add_co_ci_u32_e64 v39, s0, 0, v27, s0
	s_barrier
	buffer_gl0_inv
	s_clause 0xb
	global_load_dwordx4 v[2:5], v94, s[12:13] offset:272
	global_load_dwordx4 v[6:9], v94, s[12:13] offset:288
	;; [unrolled: 1-line block ×3, first 2 shown]
	global_load_dwordx2 v[62:63], v94, s[12:13] offset:320
	global_load_dwordx4 v[14:17], v94, s[12:13] offset:1240
	global_load_dwordx4 v[18:21], v94, s[12:13] offset:1224
	;; [unrolled: 1-line block ×3, first 2 shown]
	global_load_dwordx2 v[90:91], v94, s[12:13] offset:1272
	global_load_dwordx4 v[26:29], v[38:39], off offset:1224
	global_load_dwordx4 v[30:33], v[38:39], off offset:1240
	;; [unrolled: 1-line block ×3, first 2 shown]
	global_load_dwordx2 v[92:93], v[38:39], off offset:1272
	ds_read2_b64 v[38:41], v67 offset0:51 offset1:68
	ds_read2_b64 v[42:45], v67 offset0:85 offset1:102
	;; [unrolled: 1-line block ×3, first 2 shown]
	ds_read2_b32 v[94:95], v0 offset0:152 offset1:153
	ds_read2_b64 v[50:53], v0 offset0:127 offset1:144
	ds_read2_b64 v[54:57], v77 offset0:33 offset1:50
	;; [unrolled: 1-line block ×7, first 2 shown]
	ds_read_b64 v[75:76], v75
	ds_read_b64 v[96:97], v67 offset:1496
	ds_read_b64 v[98:99], v67 offset:3128
	s_waitcnt vmcnt(0) lgkmcnt(0)
	s_barrier
	buffer_gl0_inv
	v_mul_f32_e32 v0, v3, v39
	v_mul_f32_e32 v3, v3, v38
	;; [unrolled: 1-line block ×42, first 2 shown]
	v_fmac_f32_e32 v0, v2, v38
	v_fma_f32 v2, v2, v39, -v3
	v_fmac_f32_e32 v100, v4, v44
	v_fma_f32 v3, v4, v45, -v5
	;; [unrolled: 2-line block ×21, first 2 shown]
	v_sub_f32_e32 v23, v75, v102
	v_sub_f32_e32 v5, v76, v5
	;; [unrolled: 1-line block ×24, first 2 shown]
	v_fma_f32 v35, v75, 2.0, -v23
	v_fma_f32 v36, v76, 2.0, -v5
	v_fma_f32 v37, v100, 2.0, -v24
	v_fma_f32 v3, v3, 2.0, -v7
	v_fma_f32 v0, v0, 2.0, -v25
	v_fma_f32 v38, v2, 2.0, -v6
	v_fma_f32 v2, v101, 2.0, -v26
	v_fma_f32 v4, v4, 2.0, -v8
	v_add_f32_e32 v39, v23, v7
	v_sub_f32_e32 v40, v5, v24
	v_add_f32_e32 v24, v25, v8
	v_sub_f32_e32 v26, v6, v26
	v_fma_f32 v41, v70, 2.0, -v27
	v_fma_f32 v42, v71, 2.0, -v12
	v_fma_f32 v7, v107, 2.0, -v28
	v_fma_f32 v8, v10, 2.0, -v14
	v_fma_f32 v43, v106, 2.0, -v29
	v_fma_f32 v44, v9, 2.0, -v13
	v_fma_f32 v9, v108, 2.0, -v30
	v_fma_f32 v10, v11, 2.0, -v15
	v_add_f32_e32 v45, v27, v14
	v_sub_f32_e32 v46, v12, v28
	v_add_f32_e32 v28, v29, v15
	v_sub_f32_e32 v30, v13, v30
	;; [unrolled: 12-line block ×3, first 2 shown]
	v_sub_f32_e32 v32, v35, v37
	v_sub_f32_e32 v34, v36, v3
	v_fma_f32 v51, v23, 2.0, -v39
	v_fma_f32 v52, v5, 2.0, -v40
	v_sub_f32_e32 v23, v0, v2
	v_sub_f32_e32 v37, v38, v4
	v_fma_f32 v25, v25, 2.0, -v24
	v_fma_f32 v53, v6, 2.0, -v26
	v_fmamk_f32 v2, v24, 0x3f3504f3, v39
	v_sub_f32_e32 v54, v41, v7
	v_sub_f32_e32 v55, v42, v8
	v_fma_f32 v56, v27, 2.0, -v45
	v_fma_f32 v57, v12, 2.0, -v46
	v_sub_f32_e32 v27, v43, v9
	v_sub_f32_e32 v58, v44, v10
	v_fma_f32 v29, v29, 2.0, -v28
	v_fma_f32 v59, v13, 2.0, -v30
	v_sub_f32_e32 v60, v47, v11
	v_sub_f32_e32 v61, v48, v14
	v_fma_f32 v62, v31, 2.0, -v49
	v_fma_f32 v63, v19, 2.0, -v50
	v_sub_f32_e32 v19, v17, v15
	v_sub_f32_e32 v18, v16, v18
	v_fma_f32 v70, v33, 2.0, -v21
	v_fma_f32 v71, v20, 2.0, -v22
	v_fmamk_f32 v3, v26, 0x3f3504f3, v40
	v_fmamk_f32 v4, v28, 0x3f3504f3, v45
	;; [unrolled: 1-line block ×5, first 2 shown]
	v_fma_f32 v72, v35, 2.0, -v32
	v_fma_f32 v73, v36, 2.0, -v34
	;; [unrolled: 1-line block ×4, first 2 shown]
	v_fmamk_f32 v8, v25, 0xbf3504f3, v51
	v_fmamk_f32 v9, v53, 0xbf3504f3, v52
	v_add_f32_e32 v10, v32, v37
	v_sub_f32_e32 v11, v34, v23
	v_fmac_f32_e32 v2, 0x3f3504f3, v26
	v_fma_f32 v38, v41, 2.0, -v54
	v_fma_f32 v41, v42, 2.0, -v55
	;; [unrolled: 1-line block ×4, first 2 shown]
	v_fmamk_f32 v12, v29, 0xbf3504f3, v56
	v_fmamk_f32 v13, v59, 0xbf3504f3, v57
	v_add_f32_e32 v14, v54, v58
	v_sub_f32_e32 v15, v55, v27
	v_fma_f32 v42, v47, 2.0, -v60
	v_fma_f32 v43, v48, 2.0, -v61
	;; [unrolled: 1-line block ×4, first 2 shown]
	v_fmamk_f32 v16, v70, 0xbf3504f3, v62
	v_fmamk_f32 v17, v71, 0xbf3504f3, v63
	v_fmac_f32_e32 v3, 0xbf3504f3, v24
	v_add_f32_e32 v18, v60, v18
	v_sub_f32_e32 v19, v61, v19
	v_fmac_f32_e32 v4, 0x3f3504f3, v30
	v_fmac_f32_e32 v5, 0xbf3504f3, v28
	;; [unrolled: 1-line block ×4, first 2 shown]
	v_sub_f32_e32 v20, v72, v0
	v_sub_f32_e32 v21, v73, v31
	v_fmac_f32_e32 v8, 0x3f3504f3, v53
	v_fmac_f32_e32 v9, 0xbf3504f3, v25
	v_fma_f32 v22, v32, 2.0, -v10
	v_fma_f32 v23, v34, 2.0, -v11
	v_sub_f32_e32 v26, v38, v26
	v_sub_f32_e32 v27, v41, v33
	v_fmac_f32_e32 v12, 0x3f3504f3, v59
	v_fmac_f32_e32 v13, 0xbf3504f3, v29
	v_fma_f32 v28, v54, 2.0, -v14
	v_fma_f32 v29, v55, 2.0, -v15
	;; [unrolled: 6-line block ×3, first 2 shown]
	v_fma_f32 v34, v60, 2.0, -v18
	v_fma_f32 v35, v61, 2.0, -v19
	;; [unrolled: 1-line block ×6, first 2 shown]
	ds_write2_b64 v77, v[10:11], v[14:15] offset0:50 offset1:67
	ds_write2_b64 v77, v[18:19], v[2:3] offset0:84 offset1:101
	;; [unrolled: 1-line block ×3, first 2 shown]
	v_fma_f32 v2, v72, 2.0, -v20
	v_fma_f32 v3, v73, 2.0, -v21
	;; [unrolled: 1-line block ×12, first 2 shown]
	ds_write2_b64 v67, v[22:23], v[28:29] offset0:102 offset1:119
	ds_write2_b64 v67, v[20:21], v[26:27] offset0:204 offset1:221
	;; [unrolled: 1-line block ×6, first 2 shown]
	ds_write2_b64 v67, v[2:3], v[6:7] offset1:17
	ds_write2_b64 v67, v[14:15], v[4:5] offset0:34 offset1:51
	ds_write2_b64 v67, v[10:11], v[18:19] offset0:68 offset1:85
	s_waitcnt lgkmcnt(0)
	s_barrier
	buffer_gl0_inv
	s_and_saveexec_b32 s0, vcc_lo
	s_cbranch_execz .LBB0_22
; %bb.21:
	v_mul_lo_u32 v0, s3, v68
	v_mul_lo_u32 v4, s2, v69
	v_mad_u64_u32 v[2:3], null, s2, v68, 0
	v_lshl_add_u32 v18, v66, 3, v74
	v_mov_b32_e32 v67, v1
	v_lshlrev_b64 v[10:11], 3, v[64:65]
	v_add_nc_u32_e32 v24, 0x800, v18
	v_add3_u32 v3, v3, v4, v0
	v_add_nc_u32_e32 v0, 17, v66
	v_lshlrev_b64 v[12:13], 3, v[66:67]
	v_lshlrev_b64 v[6:7], 3, v[2:3]
	ds_read2_b64 v[2:5], v18 offset1:17
	v_lshlrev_b64 v[14:15], 3, v[0:1]
	v_add_nc_u32_e32 v0, 34, v66
	v_add_co_u32 v16, vcc_lo, s10, v6
	v_add_co_ci_u32_e32 v17, vcc_lo, s11, v7, vcc_lo
	ds_read2_b64 v[6:9], v18 offset0:34 offset1:51
	v_add_co_u32 v22, vcc_lo, v16, v10
	v_add_co_ci_u32_e32 v23, vcc_lo, v17, v11, vcc_lo
	v_lshlrev_b64 v[10:11], 3, v[0:1]
	v_add_co_u32 v12, vcc_lo, v22, v12
	v_add_co_ci_u32_e32 v13, vcc_lo, v23, v13, vcc_lo
	v_add_co_u32 v14, vcc_lo, v22, v14
	v_add_co_ci_u32_e32 v15, vcc_lo, v23, v15, vcc_lo
	v_add_nc_u32_e32 v0, 51, v66
	v_add_co_u32 v10, vcc_lo, v22, v10
	v_add_co_ci_u32_e32 v11, vcc_lo, v23, v11, vcc_lo
	v_lshlrev_b64 v[16:17], 3, v[0:1]
	v_add_nc_u32_e32 v0, 0x44, v66
	s_waitcnt lgkmcnt(1)
	global_store_dwordx2 v[12:13], v[2:3], off
	global_store_dwordx2 v[14:15], v[4:5], off
	s_waitcnt lgkmcnt(0)
	global_store_dwordx2 v[10:11], v[6:7], off
	ds_read2_b64 v[2:5], v18 offset0:68 offset1:85
	v_lshlrev_b64 v[6:7], 3, v[0:1]
	v_add_nc_u32_e32 v0, 0x55, v66
	v_add_co_u32 v10, vcc_lo, v22, v16
	v_add_co_ci_u32_e32 v11, vcc_lo, v23, v17, vcc_lo
	v_lshlrev_b64 v[12:13], 3, v[0:1]
	v_add_co_u32 v6, vcc_lo, v22, v6
	v_add_co_ci_u32_e32 v7, vcc_lo, v23, v7, vcc_lo
	v_add_nc_u32_e32 v0, 0x66, v66
	v_add_co_u32 v12, vcc_lo, v22, v12
	v_add_co_ci_u32_e32 v13, vcc_lo, v23, v13, vcc_lo
	v_lshlrev_b64 v[14:15], 3, v[0:1]
	v_add_nc_u32_e32 v0, 0x77, v66
	global_store_dwordx2 v[10:11], v[8:9], off
	s_waitcnt lgkmcnt(0)
	global_store_dwordx2 v[6:7], v[2:3], off
	global_store_dwordx2 v[12:13], v[4:5], off
	ds_read2_b64 v[2:5], v18 offset0:102 offset1:119
	ds_read2_b64 v[6:9], v18 offset0:136 offset1:153
	v_lshlrev_b64 v[10:11], 3, v[0:1]
	v_add_nc_u32_e32 v0, 0x88, v66
	v_add_co_u32 v12, vcc_lo, v22, v14
	v_add_co_ci_u32_e32 v13, vcc_lo, v23, v15, vcc_lo
	v_lshlrev_b64 v[14:15], 3, v[0:1]
	v_add_co_u32 v10, vcc_lo, v22, v10
	v_add_co_ci_u32_e32 v11, vcc_lo, v23, v11, vcc_lo
	v_add_nc_u32_e32 v0, 0x99, v66
	v_add_co_u32 v14, vcc_lo, v22, v14
	v_add_co_ci_u32_e32 v15, vcc_lo, v23, v15, vcc_lo
	v_lshlrev_b64 v[16:17], 3, v[0:1]
	v_add_nc_u32_e32 v0, 0xaa, v66
	s_waitcnt lgkmcnt(1)
	global_store_dwordx2 v[12:13], v[2:3], off
	global_store_dwordx2 v[10:11], v[4:5], off
	s_waitcnt lgkmcnt(0)
	global_store_dwordx2 v[14:15], v[6:7], off
	ds_read2_b64 v[2:5], v18 offset0:170 offset1:187
	v_lshlrev_b64 v[6:7], 3, v[0:1]
	v_add_nc_u32_e32 v0, 0xbb, v66
	v_add_co_u32 v10, vcc_lo, v22, v16
	v_add_co_ci_u32_e32 v11, vcc_lo, v23, v17, vcc_lo
	v_lshlrev_b64 v[12:13], 3, v[0:1]
	v_add_co_u32 v6, vcc_lo, v22, v6
	v_add_co_ci_u32_e32 v7, vcc_lo, v23, v7, vcc_lo
	v_add_nc_u32_e32 v0, 0xcc, v66
	v_add_co_u32 v12, vcc_lo, v22, v12
	v_add_co_ci_u32_e32 v13, vcc_lo, v23, v13, vcc_lo
	v_lshlrev_b64 v[14:15], 3, v[0:1]
	v_add_nc_u32_e32 v0, 0xdd, v66
	global_store_dwordx2 v[10:11], v[8:9], off
	s_waitcnt lgkmcnt(0)
	global_store_dwordx2 v[6:7], v[2:3], off
	global_store_dwordx2 v[12:13], v[4:5], off
	ds_read2_b64 v[2:5], v18 offset0:204 offset1:221
	ds_read2_b64 v[6:9], v18 offset0:238 offset1:255
	v_lshlrev_b64 v[10:11], 3, v[0:1]
	v_add_nc_u32_e32 v0, 0xee, v66
	v_add_co_u32 v12, vcc_lo, v22, v14
	v_add_co_ci_u32_e32 v13, vcc_lo, v23, v15, vcc_lo
	v_lshlrev_b64 v[14:15], 3, v[0:1]
	v_add_nc_u32_e32 v0, 0xff, v66
	v_add_co_u32 v10, vcc_lo, v22, v10
	v_add_co_ci_u32_e32 v11, vcc_lo, v23, v11, vcc_lo
	v_add_co_u32 v14, vcc_lo, v22, v14
	v_lshlrev_b64 v[16:17], 3, v[0:1]
	v_add_nc_u32_e32 v0, 0x110, v66
	v_add_co_ci_u32_e32 v15, vcc_lo, v23, v15, vcc_lo
	s_waitcnt lgkmcnt(1)
	global_store_dwordx2 v[12:13], v[2:3], off
	global_store_dwordx2 v[10:11], v[4:5], off
	s_waitcnt lgkmcnt(0)
	global_store_dwordx2 v[14:15], v[6:7], off
	v_lshlrev_b64 v[6:7], 3, v[0:1]
	v_add_nc_u32_e32 v0, 0x121, v66
	ds_read2_b64 v[2:5], v24 offset0:16 offset1:33
	v_add_co_u32 v14, vcc_lo, v22, v16
	ds_read2_b64 v[10:13], v24 offset0:50 offset1:67
	v_add_co_ci_u32_e32 v15, vcc_lo, v23, v17, vcc_lo
	v_lshlrev_b64 v[16:17], 3, v[0:1]
	v_add_nc_u32_e32 v0, 0x132, v66
	v_add_co_u32 v6, vcc_lo, v22, v6
	v_add_co_ci_u32_e32 v7, vcc_lo, v23, v7, vcc_lo
	v_lshlrev_b64 v[18:19], 3, v[0:1]
	v_add_nc_u32_e32 v0, 0x143, v66
	v_add_co_u32 v16, vcc_lo, v22, v16
	;; [unrolled: 4-line block ×3, first 2 shown]
	v_add_co_ci_u32_e32 v19, vcc_lo, v23, v19, vcc_lo
	global_store_dwordx2 v[14:15], v[8:9], off
	s_waitcnt lgkmcnt(1)
	global_store_dwordx2 v[6:7], v[2:3], off
	global_store_dwordx2 v[16:17], v[4:5], off
	s_waitcnt lgkmcnt(0)
	global_store_dwordx2 v[18:19], v[10:11], off
	v_lshlrev_b64 v[10:11], 3, v[0:1]
	v_add_nc_u32_e32 v0, 0x165, v66
	ds_read2_b64 v[2:5], v24 offset0:84 offset1:101
	ds_read2_b64 v[6:9], v24 offset0:118 offset1:135
	v_add_co_u32 v14, vcc_lo, v22, v20
	v_lshlrev_b64 v[16:17], 3, v[0:1]
	v_add_nc_u32_e32 v0, 0x176, v66
	v_add_co_ci_u32_e32 v15, vcc_lo, v23, v21, vcc_lo
	v_add_co_u32 v10, vcc_lo, v22, v10
	v_lshlrev_b64 v[18:19], 3, v[0:1]
	v_add_nc_u32_e32 v0, 0x187, v66
	v_add_co_ci_u32_e32 v11, vcc_lo, v23, v11, vcc_lo
	v_add_co_u32 v16, vcc_lo, v22, v16
	v_lshlrev_b64 v[0:1], 3, v[0:1]
	v_add_co_ci_u32_e32 v17, vcc_lo, v23, v17, vcc_lo
	v_add_co_u32 v18, vcc_lo, v22, v18
	v_add_co_ci_u32_e32 v19, vcc_lo, v23, v19, vcc_lo
	v_add_co_u32 v0, vcc_lo, v22, v0
	v_add_co_ci_u32_e32 v1, vcc_lo, v23, v1, vcc_lo
	global_store_dwordx2 v[14:15], v[12:13], off
	s_waitcnt lgkmcnt(1)
	global_store_dwordx2 v[10:11], v[2:3], off
	global_store_dwordx2 v[16:17], v[4:5], off
	s_waitcnt lgkmcnt(0)
	global_store_dwordx2 v[18:19], v[6:7], off
	global_store_dwordx2 v[0:1], v[8:9], off
.LBB0_22:
	s_endpgm
	.section	.rodata,"a",@progbits
	.p2align	6, 0x0
	.amdhsa_kernel fft_rtc_back_len408_factors_17_3_8_wgs_51_tpt_17_halfLds_sp_op_CI_CI_unitstride_sbrr_C2R_dirReg
		.amdhsa_group_segment_fixed_size 0
		.amdhsa_private_segment_fixed_size 0
		.amdhsa_kernarg_size 104
		.amdhsa_user_sgpr_count 6
		.amdhsa_user_sgpr_private_segment_buffer 1
		.amdhsa_user_sgpr_dispatch_ptr 0
		.amdhsa_user_sgpr_queue_ptr 0
		.amdhsa_user_sgpr_kernarg_segment_ptr 1
		.amdhsa_user_sgpr_dispatch_id 0
		.amdhsa_user_sgpr_flat_scratch_init 0
		.amdhsa_user_sgpr_private_segment_size 0
		.amdhsa_wavefront_size32 1
		.amdhsa_uses_dynamic_stack 0
		.amdhsa_system_sgpr_private_segment_wavefront_offset 0
		.amdhsa_system_sgpr_workgroup_id_x 1
		.amdhsa_system_sgpr_workgroup_id_y 0
		.amdhsa_system_sgpr_workgroup_id_z 0
		.amdhsa_system_sgpr_workgroup_info 0
		.amdhsa_system_vgpr_workitem_id 0
		.amdhsa_next_free_vgpr 251
		.amdhsa_next_free_sgpr 27
		.amdhsa_reserve_vcc 1
		.amdhsa_reserve_flat_scratch 0
		.amdhsa_float_round_mode_32 0
		.amdhsa_float_round_mode_16_64 0
		.amdhsa_float_denorm_mode_32 3
		.amdhsa_float_denorm_mode_16_64 3
		.amdhsa_dx10_clamp 1
		.amdhsa_ieee_mode 1
		.amdhsa_fp16_overflow 0
		.amdhsa_workgroup_processor_mode 1
		.amdhsa_memory_ordered 1
		.amdhsa_forward_progress 0
		.amdhsa_shared_vgpr_count 0
		.amdhsa_exception_fp_ieee_invalid_op 0
		.amdhsa_exception_fp_denorm_src 0
		.amdhsa_exception_fp_ieee_div_zero 0
		.amdhsa_exception_fp_ieee_overflow 0
		.amdhsa_exception_fp_ieee_underflow 0
		.amdhsa_exception_fp_ieee_inexact 0
		.amdhsa_exception_int_div_zero 0
	.end_amdhsa_kernel
	.text
.Lfunc_end0:
	.size	fft_rtc_back_len408_factors_17_3_8_wgs_51_tpt_17_halfLds_sp_op_CI_CI_unitstride_sbrr_C2R_dirReg, .Lfunc_end0-fft_rtc_back_len408_factors_17_3_8_wgs_51_tpt_17_halfLds_sp_op_CI_CI_unitstride_sbrr_C2R_dirReg
                                        ; -- End function
	.section	.AMDGPU.csdata,"",@progbits
; Kernel info:
; codeLenInByte = 17776
; NumSgprs: 29
; NumVgprs: 251
; ScratchSize: 0
; MemoryBound: 0
; FloatMode: 240
; IeeeMode: 1
; LDSByteSize: 0 bytes/workgroup (compile time only)
; SGPRBlocks: 3
; VGPRBlocks: 31
; NumSGPRsForWavesPerEU: 29
; NumVGPRsForWavesPerEU: 251
; Occupancy: 4
; WaveLimiterHint : 1
; COMPUTE_PGM_RSRC2:SCRATCH_EN: 0
; COMPUTE_PGM_RSRC2:USER_SGPR: 6
; COMPUTE_PGM_RSRC2:TRAP_HANDLER: 0
; COMPUTE_PGM_RSRC2:TGID_X_EN: 1
; COMPUTE_PGM_RSRC2:TGID_Y_EN: 0
; COMPUTE_PGM_RSRC2:TGID_Z_EN: 0
; COMPUTE_PGM_RSRC2:TIDIG_COMP_CNT: 0
	.text
	.p2alignl 6, 3214868480
	.fill 48, 4, 3214868480
	.type	__hip_cuid_ddb636fd1ef0590b,@object ; @__hip_cuid_ddb636fd1ef0590b
	.section	.bss,"aw",@nobits
	.globl	__hip_cuid_ddb636fd1ef0590b
__hip_cuid_ddb636fd1ef0590b:
	.byte	0                               ; 0x0
	.size	__hip_cuid_ddb636fd1ef0590b, 1

	.ident	"AMD clang version 19.0.0git (https://github.com/RadeonOpenCompute/llvm-project roc-6.4.0 25133 c7fe45cf4b819c5991fe208aaa96edf142730f1d)"
	.section	".note.GNU-stack","",@progbits
	.addrsig
	.addrsig_sym __hip_cuid_ddb636fd1ef0590b
	.amdgpu_metadata
---
amdhsa.kernels:
  - .args:
      - .actual_access:  read_only
        .address_space:  global
        .offset:         0
        .size:           8
        .value_kind:     global_buffer
      - .offset:         8
        .size:           8
        .value_kind:     by_value
      - .actual_access:  read_only
        .address_space:  global
        .offset:         16
        .size:           8
        .value_kind:     global_buffer
      - .actual_access:  read_only
        .address_space:  global
        .offset:         24
        .size:           8
        .value_kind:     global_buffer
      - .actual_access:  read_only
        .address_space:  global
        .offset:         32
        .size:           8
        .value_kind:     global_buffer
      - .offset:         40
        .size:           8
        .value_kind:     by_value
      - .actual_access:  read_only
        .address_space:  global
        .offset:         48
        .size:           8
        .value_kind:     global_buffer
      - .actual_access:  read_only
        .address_space:  global
        .offset:         56
        .size:           8
        .value_kind:     global_buffer
      - .offset:         64
        .size:           4
        .value_kind:     by_value
      - .actual_access:  read_only
        .address_space:  global
        .offset:         72
        .size:           8
        .value_kind:     global_buffer
      - .actual_access:  read_only
        .address_space:  global
        .offset:         80
        .size:           8
        .value_kind:     global_buffer
      - .actual_access:  read_only
        .address_space:  global
        .offset:         88
        .size:           8
        .value_kind:     global_buffer
      - .actual_access:  write_only
        .address_space:  global
        .offset:         96
        .size:           8
        .value_kind:     global_buffer
    .group_segment_fixed_size: 0
    .kernarg_segment_align: 8
    .kernarg_segment_size: 104
    .language:       OpenCL C
    .language_version:
      - 2
      - 0
    .max_flat_workgroup_size: 51
    .name:           fft_rtc_back_len408_factors_17_3_8_wgs_51_tpt_17_halfLds_sp_op_CI_CI_unitstride_sbrr_C2R_dirReg
    .private_segment_fixed_size: 0
    .sgpr_count:     29
    .sgpr_spill_count: 0
    .symbol:         fft_rtc_back_len408_factors_17_3_8_wgs_51_tpt_17_halfLds_sp_op_CI_CI_unitstride_sbrr_C2R_dirReg.kd
    .uniform_work_group_size: 1
    .uses_dynamic_stack: false
    .vgpr_count:     251
    .vgpr_spill_count: 0
    .wavefront_size: 32
    .workgroup_processor_mode: 1
amdhsa.target:   amdgcn-amd-amdhsa--gfx1030
amdhsa.version:
  - 1
  - 2
...

	.end_amdgpu_metadata
